;; amdgpu-corpus repo=ROCm/rocFFT kind=compiled arch=gfx950 opt=O3
	.text
	.amdgcn_target "amdgcn-amd-amdhsa--gfx950"
	.amdhsa_code_object_version 6
	.protected	fft_rtc_fwd_len1925_factors_7_11_5_5_wgs_55_tpt_55_halfLds_sp_op_CI_CI_sbrr_dirReg ; -- Begin function fft_rtc_fwd_len1925_factors_7_11_5_5_wgs_55_tpt_55_halfLds_sp_op_CI_CI_sbrr_dirReg
	.globl	fft_rtc_fwd_len1925_factors_7_11_5_5_wgs_55_tpt_55_halfLds_sp_op_CI_CI_sbrr_dirReg
	.p2align	8
	.type	fft_rtc_fwd_len1925_factors_7_11_5_5_wgs_55_tpt_55_halfLds_sp_op_CI_CI_sbrr_dirReg,@function
fft_rtc_fwd_len1925_factors_7_11_5_5_wgs_55_tpt_55_halfLds_sp_op_CI_CI_sbrr_dirReg: ; @fft_rtc_fwd_len1925_factors_7_11_5_5_wgs_55_tpt_55_halfLds_sp_op_CI_CI_sbrr_dirReg
; %bb.0:
	s_load_dwordx4 s[12:15], s[0:1], 0x18
	s_load_dwordx4 s[8:11], s[0:1], 0x0
	;; [unrolled: 1-line block ×3, first 2 shown]
	v_mul_u32_u24_e32 v1, 0x4a8, v0
	v_add_u32_sdwa v10, s2, v1 dst_sel:DWORD dst_unused:UNUSED_PAD src0_sel:DWORD src1_sel:WORD_1
	s_waitcnt lgkmcnt(0)
	s_load_dwordx2 s[18:19], s[12:13], 0x0
	s_load_dwordx2 s[16:17], s[14:15], 0x0
	v_mov_b32_e32 v8, 0
	v_cmp_lt_u64_e64 s[2:3], s[10:11], 2
	v_mov_b32_e32 v11, v8
	s_and_b64 vcc, exec, s[2:3]
	v_mov_b64_e32 v[6:7], 0
	s_cbranch_vccnz .LBB0_8
; %bb.1:
	s_load_dwordx2 s[2:3], s[0:1], 0x10
	s_add_u32 s20, s14, 8
	s_addc_u32 s21, s15, 0
	s_add_u32 s22, s12, 8
	s_addc_u32 s23, s13, 0
	s_waitcnt lgkmcnt(0)
	s_add_u32 s24, s2, 8
	v_mov_b64_e32 v[6:7], 0
	s_addc_u32 s25, s3, 0
	s_mov_b64 s[26:27], 1
	v_mov_b64_e32 v[2:3], v[6:7]
.LBB0_2:                                ; =>This Inner Loop Header: Depth=1
	s_load_dwordx2 s[28:29], s[24:25], 0x0
                                        ; implicit-def: $vgpr4_vgpr5
	s_waitcnt lgkmcnt(0)
	v_or_b32_e32 v9, s29, v11
	v_cmp_ne_u64_e32 vcc, 0, v[8:9]
	s_and_saveexec_b64 s[2:3], vcc
	s_xor_b64 s[30:31], exec, s[2:3]
	s_cbranch_execz .LBB0_4
; %bb.3:                                ;   in Loop: Header=BB0_2 Depth=1
	v_cvt_f32_u32_e32 v1, s28
	v_cvt_f32_u32_e32 v4, s29
	s_sub_u32 s2, 0, s28
	s_subb_u32 s3, 0, s29
	v_fmac_f32_e32 v1, 0x4f800000, v4
	v_rcp_f32_e32 v1, v1
	s_nop 0
	v_mul_f32_e32 v1, 0x5f7ffffc, v1
	v_mul_f32_e32 v4, 0x2f800000, v1
	v_trunc_f32_e32 v4, v4
	v_fmac_f32_e32 v1, 0xcf800000, v4
	v_cvt_u32_f32_e32 v9, v4
	v_cvt_u32_f32_e32 v1, v1
	v_mul_lo_u32 v4, s2, v9
	v_mul_hi_u32 v12, s2, v1
	v_mul_lo_u32 v5, s3, v1
	v_add_u32_e32 v12, v12, v4
	v_mul_lo_u32 v14, s2, v1
	v_add_u32_e32 v15, v12, v5
	v_mul_hi_u32 v4, v1, v14
	v_mul_hi_u32 v13, v1, v15
	v_mul_lo_u32 v12, v1, v15
	v_mov_b32_e32 v5, v8
	v_lshl_add_u64 v[4:5], v[4:5], 0, v[12:13]
	v_mul_hi_u32 v13, v9, v14
	v_mul_lo_u32 v14, v9, v14
	v_add_co_u32_e32 v4, vcc, v4, v14
	v_mul_hi_u32 v12, v9, v15
	s_nop 0
	v_addc_co_u32_e32 v4, vcc, v5, v13, vcc
	v_mov_b32_e32 v5, v8
	s_nop 0
	v_addc_co_u32_e32 v13, vcc, 0, v12, vcc
	v_mul_lo_u32 v12, v9, v15
	v_lshl_add_u64 v[4:5], v[4:5], 0, v[12:13]
	v_add_co_u32_e32 v1, vcc, v1, v4
	v_mul_lo_u32 v12, s2, v1
	s_nop 0
	v_addc_co_u32_e32 v9, vcc, v9, v5, vcc
	v_mul_lo_u32 v4, s2, v9
	v_mul_hi_u32 v5, s2, v1
	v_add_u32_e32 v4, v5, v4
	v_mul_lo_u32 v5, s3, v1
	v_add_u32_e32 v14, v4, v5
	v_mul_hi_u32 v16, v9, v12
	v_mul_lo_u32 v17, v9, v12
	v_mul_hi_u32 v5, v1, v14
	v_mul_lo_u32 v4, v1, v14
	v_mul_hi_u32 v12, v1, v12
	v_mov_b32_e32 v13, v8
	v_lshl_add_u64 v[4:5], v[12:13], 0, v[4:5]
	v_add_co_u32_e32 v4, vcc, v4, v17
	v_mul_hi_u32 v15, v9, v14
	s_nop 0
	v_addc_co_u32_e32 v4, vcc, v5, v16, vcc
	v_mul_lo_u32 v12, v9, v14
	s_nop 0
	v_addc_co_u32_e32 v13, vcc, 0, v15, vcc
	v_mov_b32_e32 v5, v8
	v_lshl_add_u64 v[4:5], v[4:5], 0, v[12:13]
	v_add_co_u32_e32 v1, vcc, v1, v4
	v_mul_hi_u32 v12, v10, v1
	s_nop 0
	v_addc_co_u32_e32 v9, vcc, v9, v5, vcc
	v_mad_u64_u32 v[4:5], s[2:3], v10, v9, 0
	v_mov_b32_e32 v13, v8
	v_lshl_add_u64 v[4:5], v[12:13], 0, v[4:5]
	v_mad_u64_u32 v[14:15], s[2:3], v11, v1, 0
	v_add_co_u32_e32 v1, vcc, v4, v14
	v_mad_u64_u32 v[12:13], s[2:3], v11, v9, 0
	s_nop 0
	v_addc_co_u32_e32 v4, vcc, v5, v15, vcc
	v_mov_b32_e32 v5, v8
	s_nop 0
	v_addc_co_u32_e32 v13, vcc, 0, v13, vcc
	v_lshl_add_u64 v[4:5], v[4:5], 0, v[12:13]
	v_mul_lo_u32 v1, s29, v4
	v_mul_lo_u32 v9, s28, v5
	v_mad_u64_u32 v[12:13], s[2:3], s28, v4, 0
	v_add3_u32 v1, v13, v9, v1
	v_sub_u32_e32 v9, v11, v1
	v_mov_b32_e32 v13, s29
	v_sub_co_u32_e32 v16, vcc, v10, v12
	v_lshl_add_u64 v[14:15], v[4:5], 0, 1
	s_nop 0
	v_subb_co_u32_e64 v9, s[2:3], v9, v13, vcc
	v_subrev_co_u32_e64 v12, s[2:3], s28, v16
	v_subb_co_u32_e32 v1, vcc, v11, v1, vcc
	s_nop 0
	v_subbrev_co_u32_e64 v9, s[2:3], 0, v9, s[2:3]
	v_cmp_le_u32_e64 s[2:3], s29, v9
	v_cmp_le_u32_e32 vcc, s29, v1
	s_nop 0
	v_cndmask_b32_e64 v13, 0, -1, s[2:3]
	v_cmp_le_u32_e64 s[2:3], s28, v12
	s_nop 1
	v_cndmask_b32_e64 v12, 0, -1, s[2:3]
	v_cmp_eq_u32_e64 s[2:3], s29, v9
	s_nop 1
	v_cndmask_b32_e64 v9, v13, v12, s[2:3]
	v_lshl_add_u64 v[12:13], v[4:5], 0, 2
	v_cmp_ne_u32_e64 s[2:3], 0, v9
	s_nop 1
	v_cndmask_b32_e64 v9, v15, v13, s[2:3]
	v_cndmask_b32_e64 v13, 0, -1, vcc
	v_cmp_le_u32_e32 vcc, s28, v16
	s_nop 1
	v_cndmask_b32_e64 v15, 0, -1, vcc
	v_cmp_eq_u32_e32 vcc, s29, v1
	s_nop 1
	v_cndmask_b32_e32 v1, v13, v15, vcc
	v_cmp_ne_u32_e32 vcc, 0, v1
	v_cndmask_b32_e64 v1, v14, v12, s[2:3]
	s_nop 0
	v_cndmask_b32_e32 v5, v5, v9, vcc
	v_cndmask_b32_e32 v4, v4, v1, vcc
.LBB0_4:                                ;   in Loop: Header=BB0_2 Depth=1
	s_andn2_saveexec_b64 s[2:3], s[30:31]
	s_cbranch_execz .LBB0_6
; %bb.5:                                ;   in Loop: Header=BB0_2 Depth=1
	v_cvt_f32_u32_e32 v1, s28
	s_sub_i32 s30, 0, s28
	v_rcp_iflag_f32_e32 v1, v1
	s_nop 0
	v_mul_f32_e32 v1, 0x4f7ffffe, v1
	v_cvt_u32_f32_e32 v1, v1
	v_mul_lo_u32 v4, s30, v1
	v_mul_hi_u32 v4, v1, v4
	v_add_u32_e32 v1, v1, v4
	v_mul_hi_u32 v1, v10, v1
	v_mul_lo_u32 v4, v1, s28
	v_sub_u32_e32 v4, v10, v4
	v_add_u32_e32 v5, 1, v1
	v_subrev_u32_e32 v9, s28, v4
	v_cmp_le_u32_e32 vcc, s28, v4
	s_nop 1
	v_cndmask_b32_e32 v4, v4, v9, vcc
	v_cndmask_b32_e32 v1, v1, v5, vcc
	v_add_u32_e32 v5, 1, v1
	v_cmp_le_u32_e32 vcc, s28, v4
	s_nop 1
	v_cndmask_b32_e32 v4, v1, v5, vcc
	v_mov_b32_e32 v5, v8
.LBB0_6:                                ;   in Loop: Header=BB0_2 Depth=1
	s_or_b64 exec, exec, s[2:3]
	v_mad_u64_u32 v[12:13], s[2:3], v4, s28, 0
	s_load_dwordx2 s[2:3], s[22:23], 0x0
	v_mul_lo_u32 v1, v5, s28
	v_mul_lo_u32 v9, v4, s29
	s_load_dwordx2 s[28:29], s[20:21], 0x0
	s_add_u32 s26, s26, 1
	v_add3_u32 v1, v13, v9, v1
	v_sub_co_u32_e32 v9, vcc, v10, v12
	s_addc_u32 s27, s27, 0
	s_nop 0
	v_subb_co_u32_e32 v1, vcc, v11, v1, vcc
	s_add_u32 s20, s20, 8
	s_waitcnt lgkmcnt(0)
	v_mul_lo_u32 v10, s2, v1
	v_mul_lo_u32 v11, s3, v9
	v_mad_u64_u32 v[6:7], s[2:3], s2, v9, v[6:7]
	s_addc_u32 s21, s21, 0
	v_add3_u32 v7, v11, v7, v10
	v_mul_lo_u32 v1, s28, v1
	v_mul_lo_u32 v10, s29, v9
	v_mad_u64_u32 v[2:3], s[2:3], s28, v9, v[2:3]
	s_add_u32 s22, s22, 8
	v_add3_u32 v3, v10, v3, v1
	s_addc_u32 s23, s23, 0
	v_mov_b64_e32 v[10:11], s[10:11]
	s_add_u32 s24, s24, 8
	v_cmp_ge_u64_e32 vcc, s[26:27], v[10:11]
	s_addc_u32 s25, s25, 0
	s_cbranch_vccnz .LBB0_9
; %bb.7:                                ;   in Loop: Header=BB0_2 Depth=1
	v_mov_b64_e32 v[10:11], v[4:5]
	s_branch .LBB0_2
.LBB0_8:
	v_mov_b64_e32 v[2:3], v[6:7]
	v_mov_b64_e32 v[4:5], v[10:11]
.LBB0_9:
	s_load_dwordx2 s[0:1], s[0:1], 0x28
	s_lshl_b64 s[10:11], s[10:11], 3
	s_add_u32 s2, s14, s10
	s_addc_u32 s3, s15, s11
                                        ; implicit-def: $sgpr14_sgpr15
                                        ; implicit-def: $vgpr118
                                        ; implicit-def: $vgpr119
                                        ; implicit-def: $vgpr120
                                        ; implicit-def: $vgpr121
                                        ; implicit-def: $vgpr122
	s_waitcnt lgkmcnt(0)
	v_cmp_gt_u64_e32 vcc, s[0:1], v[4:5]
	v_cmp_le_u64_e64 s[0:1], s[0:1], v[4:5]
	s_and_saveexec_b64 s[20:21], s[0:1]
	s_xor_b64 s[0:1], exec, s[20:21]
; %bb.10:
	s_mov_b32 s14, 0x4a7904b
	v_mul_hi_u32 v1, v0, s14
	v_mul_u32_u24_e32 v1, 55, v1
	v_sub_u32_e32 v118, v0, v1
	v_add_u32_e32 v119, 55, v118
	v_add_u32_e32 v120, 0x6e, v118
	;; [unrolled: 1-line block ×4, first 2 shown]
	s_mov_b64 s[14:15], 0
                                        ; implicit-def: $vgpr0
                                        ; implicit-def: $vgpr6_vgpr7
; %bb.11:
	s_or_saveexec_b64 s[0:1], s[0:1]
	v_mov_b64_e32 v[72:73], s[14:15]
	v_mov_b64_e32 v[74:75], s[14:15]
	;; [unrolled: 1-line block ×20, first 2 shown]
                                        ; implicit-def: $vgpr100
                                        ; implicit-def: $vgpr104
                                        ; implicit-def: $vgpr78
                                        ; implicit-def: $vgpr80
                                        ; implicit-def: $vgpr44
                                        ; implicit-def: $vgpr46
                                        ; implicit-def: $vgpr56
                                        ; implicit-def: $vgpr40
                                        ; implicit-def: $vgpr42
                                        ; implicit-def: $vgpr38
                                        ; implicit-def: $vgpr70
                                        ; implicit-def: $vgpr68
                                        ; implicit-def: $vgpr66
                                        ; implicit-def: $vgpr82
                                        ; implicit-def: $vgpr106
	s_xor_b64 exec, exec, s[0:1]
	s_cbranch_execz .LBB0_13
; %bb.12:
	s_add_u32 s10, s12, s10
	s_addc_u32 s11, s13, s11
	s_load_dwordx2 s[10:11], s[10:11], 0x0
	s_mov_b32 s12, 0x4a7904b
	s_waitcnt lgkmcnt(0)
	v_mul_lo_u32 v1, s11, v4
	v_mul_lo_u32 v8, s10, v5
	v_mad_u64_u32 v[10:11], s[10:11], s10, v4, 0
	v_add3_u32 v11, v11, v8, v1
	v_mul_hi_u32 v1, v0, s12
	v_mul_u32_u24_e32 v1, 55, v1
	v_sub_u32_e32 v118, v0, v1
	v_mad_u64_u32 v[8:9], s[10:11], s18, v118, 0
	v_mov_b32_e32 v0, v9
	v_mad_u64_u32 v[0:1], s[10:11], s19, v118, v[0:1]
	v_mov_b32_e32 v9, v0
	v_lshl_add_u64 v[0:1], v[10:11], 3, s[4:5]
	v_add_u32_e32 v11, 0x113, v118
	v_lshl_add_u64 v[0:1], v[6:7], 3, v[0:1]
	v_mad_u64_u32 v[6:7], s[4:5], s18, v11, 0
	v_mov_b32_e32 v10, v7
	v_mad_u64_u32 v[10:11], s[4:5], s19, v11, v[10:11]
	v_add_u32_e32 v13, 0x226, v118
	v_mov_b32_e32 v7, v10
	v_mad_u64_u32 v[10:11], s[4:5], s18, v13, 0
	v_mov_b32_e32 v12, v11
	v_mad_u64_u32 v[12:13], s[4:5], s19, v13, v[12:13]
	v_add_u32_e32 v15, 0x339, v118
	v_mov_b32_e32 v11, v12
	;; [unrolled: 5-line block ×33, first 2 shown]
	v_mad_u64_u32 v[74:75], s[4:5], s18, v77, 0
	v_mov_b32_e32 v76, v75
	v_mad_u64_u32 v[76:77], s[4:5], s19, v77, v[76:77]
	v_mov_b32_e32 v75, v76
	v_lshl_add_u64 v[8:9], v[8:9], 3, v[0:1]
	v_lshl_add_u64 v[22:23], v[22:23], 3, v[0:1]
	;; [unrolled: 1-line block ×35, first 2 shown]
	global_load_dwordx2 v[64:65], v[8:9], off
	global_load_dwordx2 v[72:73], v[6:7], off
	;; [unrolled: 1-line block ×15, first 2 shown]
                                        ; kill: killed $vgpr20_vgpr21
                                        ; kill: killed $vgpr6_vgpr7
                                        ; kill: killed $vgpr84_vgpr85
                                        ; kill: killed $vgpr30_vgpr31
                                        ; kill: killed $vgpr26_vgpr27
                                        ; kill: killed $vgpr8_vgpr9
                                        ; kill: killed $vgpr32_vgpr33
                                        ; kill: killed $vgpr28_vgpr29
                                        ; kill: killed $vgpr24_vgpr25
                                        ; kill: killed $vgpr16_vgpr17
                                        ; kill: killed $vgpr12_vgpr13
                                        ; kill: killed $vgpr18_vgpr19
                                        ; kill: killed $vgpr22_vgpr23
                                        ; kill: killed $vgpr14_vgpr15
                                        ; kill: killed $vgpr10_vgpr11
	global_load_dwordx2 v[48:49], v[86:87], off
	global_load_dwordx2 v[50:51], v[38:39], off
	;; [unrolled: 1-line block ×15, first 2 shown]
                                        ; kill: killed $vgpr114_vgpr115
                                        ; kill: killed $vgpr92_vgpr93
                                        ; kill: killed $vgpr88_vgpr89
                                        ; kill: killed $vgpr112_vgpr113
                                        ; kill: killed $vgpr108_vgpr109
                                        ; kill: killed $vgpr40_vgpr41
                                        ; kill: killed $vgpr98_vgpr99
                                        ; kill: killed $vgpr90_vgpr91
                                        ; kill: killed $vgpr42_vgpr43
                                        ; kill: killed $vgpr110_vgpr111
                                        ; kill: killed $vgpr38_vgpr39
                                        ; kill: killed $vgpr102_vgpr103
                                        ; kill: killed $vgpr96_vgpr97
                                        ; kill: killed $vgpr86_vgpr87
                                        ; kill: killed $vgpr94_vgpr95
	global_load_dwordx2 v[24:25], v[116:117], off
	global_load_dwordx2 v[38:39], v[124:125], off
	;; [unrolled: 1-line block ×5, first 2 shown]
.LBB0_13:
	s_or_b64 exec, exec, s[0:1]
	s_waitcnt vmcnt(29)
	v_sub_f32_e32 v7, v75, v105
	v_sub_f32_e32 v10, v77, v101
	s_waitcnt vmcnt(28)
	v_sub_f32_e32 v6, v73, v107
	v_add_f32_e32 v12, v7, v10
	v_sub_f32_e32 v13, v10, v7
	v_sub_f32_e32 v7, v7, v6
	v_add_f32_e32 v16, v6, v12
	v_mul_f32_e32 v12, 0xbf08b237, v13
	s_mov_b32 s12, 0x3f5ff5aa
	v_add_f32_e32 v1, v106, v72
	v_add_f32_e32 v0, v100, v76
	v_fma_f32 v14, v7, s12, -v12
	v_sub_f32_e32 v11, v1, v0
	v_sub_f32_e32 v15, v6, v10
	v_mul_f32_e32 v10, 0x3ee1c552, v16
	v_fmac_f32_e32 v14, 0x3ee1c552, v16
	v_add_f32_e32 v16, v104, v74
	v_mul_f32_e32 v6, 0x3f4a47b2, v11
	v_mul_f32_e32 v11, 0x3f5ff5aa, v7
	s_mov_b32 s13, 0xbeae86e6
	v_add_f32_e32 v17, v1, v16
	v_fma_f32 v13, v15, s13, -v11
	v_sub_f32_e32 v11, v16, v1
	v_pk_add_f32 v[18:19], v[0:1], v[16:17] neg_lo:[0,1] neg_hi:[0,1]
	v_pk_add_f32 v[0:1], v[0:1], v[16:17] op_sel_hi:[0,1]
	s_mov_b32 s4, 0x3d64c772
	v_mov_b32_e32 v19, v1
	s_mov_b32 s5, 0x3f955555
	v_add_f32_e32 v7, v1, v64
	v_pk_mul_f32 v[0:1], v[18:19], s[4:5]
	s_mov_b32 s14, 0x3f3bfb3b
	v_pk_fma_f32 v[16:17], v[18:19], s[4:5], v[6:7] neg_lo:[1,0,0] neg_hi:[1,0,0]
	v_fma_f32 v0, v11, s14, -v0
	v_add_f32_e32 v0, v0, v17
	v_fmac_f32_e32 v12, 0x3eae86e6, v15
	v_pk_add_f32 v[20:21], v[0:1], v[14:15] neg_lo:[0,1] neg_hi:[0,1]
	v_pk_add_f32 v[0:1], v[0:1], v[14:15]
	v_pk_fma_f32 v[14:15], v[18:19], s[4:5], v[6:7]
	s_mov_b32 s15, 0xbf3bfb3b
	v_mov_b32_e32 v15, v17
	v_mov_b32_e32 v16, v17
	v_fma_f32 v17, v11, s15, -v6
	v_mad_u32_u24 v126, v118, 28, 0
	v_pk_add_f32 v[14:15], v[14:15], v[16:17]
	v_pk_add_f32 v[10:11], v[12:13], v[10:11] op_sel_hi:[1,0]
	ds_write2_b32 v126, v20, v0 offset0:3 offset1:4
	s_waitcnt vmcnt(21)
	v_sub_f32_e32 v20, v59, v81
	v_sub_f32_e32 v1, v61, v79
	v_sub_f32_e32 v18, v63, v83
	v_pk_add_f32 v[12:13], v[14:15], v[10:11]
	v_pk_add_f32 v[10:11], v[14:15], v[10:11] neg_lo:[0,1] neg_hi:[0,1]
	v_add_f32_e32 v21, v80, v58
	v_add_f32_e32 v16, v1, v18
	v_sub_f32_e32 v17, v18, v1
	v_sub_f32_e32 v19, v1, v20
	v_mov_b32_e32 v1, v10
	ds_write2_b32 v126, v11, v10 offset0:5 offset1:6
	v_add_f32_e32 v10, v78, v60
	v_add_f32_e32 v0, v82, v62
	;; [unrolled: 1-line block ×3, first 2 shown]
	v_sub_f32_e32 v6, v21, v0
	v_pk_add_f32 v[14:15], v[0:1], v[10:11] neg_lo:[0,1] neg_hi:[0,1]
	v_pk_add_f32 v[0:1], v[0:1], v[10:11] op_sel_hi:[0,1]
	v_mov_b32_e32 v15, v1
	v_mul_f32_e32 v6, 0x3f4a47b2, v6
	ds_write_b32 v126, v7
	ds_write2_b32 v126, v12, v13 offset0:1 offset1:2
	v_mul_f32_e32 v12, 0xbf08b237, v17
	v_sub_f32_e32 v21, v10, v21
	v_add_f32_e32 v7, v1, v52
	v_pk_mul_f32 v[10:11], v[14:15], s[4:5]
	v_add_f32_e32 v64, v20, v16
	v_fma_f32 v0, v19, s12, -v12
	v_fma_f32 v1, v21, s14, -v10
	v_pk_fma_f32 v[10:11], v[14:15], s[4:5], v[6:7] neg_lo:[1,0,0] neg_hi:[1,0,0]
	v_fmac_f32_e32 v0, 0x3ee1c552, v64
	v_add_f32_e32 v10, v1, v11
	v_pk_add_f32 v[16:17], v[10:11], v[0:1] neg_lo:[0,1] neg_hi:[0,1]
	v_pk_add_f32 v[0:1], v[10:11], v[0:1]
	v_mul_f32_e32 v10, 0x3f5ff5aa, v19
	v_sub_f32_e32 v1, v20, v18
	v_mad_i32_i24 v128, v119, 28, 0
	v_fma_f32 v13, v1, s13, -v10
	v_fmac_f32_e32 v12, 0x3eae86e6, v1
	ds_write2_b32 v128, v16, v0 offset0:3 offset1:4
	v_pk_fma_f32 v[0:1], v[14:15], s[4:5], v[6:7]
	v_fma_f32 v15, v21, s15, -v6
	v_mov_b32_e32 v1, v11
	v_mov_b32_e32 v14, v11
	v_mul_f32_e32 v10, 0x3ee1c552, v64
	s_waitcnt vmcnt(15)
	v_sub_f32_e32 v17, v51, v69
	v_pk_add_f32 v[0:1], v[0:1], v[14:15]
	v_sub_f32_e32 v15, v55, v67
	s_waitcnt vmcnt(14)
	v_sub_f32_e32 v18, v49, v71
	v_pk_add_f32 v[10:11], v[12:13], v[10:11] op_sel_hi:[1,0]
	v_add_f32_e32 v12, v17, v15
	v_add_f32_e32 v21, v18, v12
	v_pk_add_f32 v[12:13], v[0:1], v[10:11]
	v_pk_add_f32 v[0:1], v[0:1], v[10:11] neg_lo:[0,1] neg_hi:[0,1]
	v_add_f32_e32 v16, v70, v48
	v_add_f32_e32 v6, v66, v54
	ds_write2_b32 v128, v1, v0 offset0:5 offset1:6
	v_add_f32_e32 v0, v68, v50
	v_sub_f32_e32 v14, v16, v6
	v_sub_f32_e32 v19, v15, v17
	v_add_f32_e32 v1, v16, v0
	ds_write2_b32 v128, v12, v13 offset0:1 offset1:2
	v_mul_f32_e32 v12, 0x3f4a47b2, v14
	v_mul_f32_e32 v14, 0xbf08b237, v19
	v_sub_f32_e32 v19, v0, v16
	v_pk_add_f32 v[10:11], v[6:7], v[0:1] neg_lo:[0,1] neg_hi:[0,1]
	v_pk_add_f32 v[0:1], v[6:7], v[0:1] op_sel_hi:[0,1]
	v_mov_b32_e32 v11, v1
	v_sub_f32_e32 v20, v17, v18
	ds_write_b32 v128, v7
	v_add_f32_e32 v13, v1, v34
	v_pk_mul_f32 v[6:7], v[10:11], s[4:5]
	v_fma_f32 v0, v20, s12, -v14
	v_fma_f32 v1, v19, s14, -v6
	v_pk_fma_f32 v[6:7], v[10:11], s[4:5], v[12:13] neg_lo:[1,0,0] neg_hi:[1,0,0]
	v_fmac_f32_e32 v0, 0x3ee1c552, v21
	v_add_f32_e32 v6, v1, v7
	v_pk_add_f32 v[16:17], v[6:7], v[0:1] neg_lo:[0,1] neg_hi:[0,1]
	v_pk_add_f32 v[0:1], v[6:7], v[0:1]
	v_mad_i32_i24 v129, v120, 28, 0
	v_sub_f32_e32 v1, v18, v15
	v_mul_f32_e32 v6, 0x3f5ff5aa, v20
	v_pk_fma_f32 v[10:11], v[10:11], s[4:5], v[12:13]
	ds_write2_b32 v129, v16, v0 offset0:3 offset1:4
	v_mul_f32_e32 v0, 0x3ee1c552, v21
	v_fmac_f32_e32 v14, 0x3eae86e6, v1
	v_fma_f32 v15, v1, s13, -v6
	v_mov_b32_e32 v11, v7
	v_mov_b32_e32 v6, v7
	v_fma_f32 v7, v19, s15, -v12
	v_pk_add_f32 v[6:7], v[10:11], v[6:7]
	v_pk_add_f32 v[0:1], v[14:15], v[0:1] op_sel_hi:[1,0]
	ds_write_b32 v129, v13
	v_pk_add_f32 v[12:13], v[6:7], v[0:1]
	v_pk_add_f32 v[0:1], v[6:7], v[0:1] neg_lo:[0,1] neg_hi:[0,1]
	s_waitcnt vmcnt(7)
	v_add_f32_e32 v16, v56, v30
	v_add_f32_e32 v10, v44, v36
	ds_write2_b32 v129, v1, v0 offset0:5 offset1:6
	v_add_f32_e32 v0, v46, v32
	v_sub_f32_e32 v11, v16, v10
	v_add_f32_e32 v1, v16, v0
	v_sub_f32_e32 v17, v33, v47
	v_sub_f32_e32 v19, v37, v45
	;; [unrolled: 1-line block ×3, first 2 shown]
	v_pk_add_f32 v[6:7], v[10:11], v[0:1] neg_lo:[0,1] neg_hi:[0,1]
	v_pk_add_f32 v[0:1], v[10:11], v[0:1] op_sel_hi:[0,1]
	v_sub_f32_e32 v18, v31, v57
	ds_write2_b32 v129, v12, v13 offset0:1 offset1:2
	v_sub_f32_e32 v13, v19, v17
	v_mov_b32_e32 v7, v1
	v_add_f32_e32 v14, v17, v19
	v_sub_f32_e32 v20, v17, v18
	v_mul_f32_e32 v12, 0x3f4a47b2, v11
	v_mul_f32_e32 v0, 0xbf08b237, v13
	v_add_f32_e32 v13, v1, v26
	v_pk_mul_f32 v[10:11], v[6:7], s[4:5]
	v_add_f32_e32 v21, v18, v14
	v_fma_f32 v1, v34, s14, -v10
	v_fma_f32 v10, v20, s12, -v0
	v_pk_fma_f32 v[14:15], v[6:7], s[4:5], v[12:13] neg_lo:[1,0,0] neg_hi:[1,0,0]
	v_fmac_f32_e32 v10, 0x3ee1c552, v21
	v_add_f32_e32 v14, v1, v15
	v_pk_add_f32 v[16:17], v[14:15], v[10:11] neg_lo:[0,1] neg_hi:[0,1]
	v_pk_add_f32 v[10:11], v[14:15], v[10:11]
	v_mad_i32_i24 v26, v121, 28, 0
	v_sub_f32_e32 v1, v18, v19
	v_mul_f32_e32 v11, 0x3f5ff5aa, v20
	v_pk_fma_f32 v[6:7], v[6:7], s[4:5], v[12:13]
	ds_write2_b32 v26, v16, v10 offset0:3 offset1:4
	v_mul_f32_e32 v10, 0x3ee1c552, v21
	v_fmac_f32_e32 v0, 0x3eae86e6, v1
	v_fma_f32 v1, v1, s13, -v11
	v_mov_b32_e32 v7, v15
	v_mov_b32_e32 v14, v15
	v_fma_f32 v15, v34, s15, -v12
	v_pk_add_f32 v[6:7], v[6:7], v[14:15]
	v_pk_add_f32 v[0:1], v[0:1], v[10:11] op_sel_hi:[1,0]
	s_waitcnt vmcnt(0)
	v_add_f32_e32 v16, v42, v8
	v_pk_add_f32 v[10:11], v[6:7], v[0:1]
	v_pk_add_f32 v[0:1], v[6:7], v[0:1] neg_lo:[0,1] neg_hi:[0,1]
	v_sub_f32_e32 v18, v25, v41
	v_add_f32_e32 v12, v38, v28
	v_sub_f32_e32 v14, v29, v39
	ds_write2_b32 v26, v1, v0 offset0:5 offset1:6
	v_add_f32_e32 v0, v40, v24
	v_sub_f32_e32 v17, v9, v43
	v_sub_f32_e32 v15, v16, v12
	ds_write2_b32 v26, v10, v11 offset0:1 offset1:2
	v_add_f32_e32 v10, v18, v14
	v_add_f32_e32 v1, v16, v0
	v_sub_f32_e32 v19, v14, v18
	v_sub_f32_e32 v14, v17, v14
	;; [unrolled: 1-line block ×3, first 2 shown]
	v_add_f32_e32 v17, v17, v10
	v_mul_f32_e32 v10, 0x3f4a47b2, v15
	v_sub_f32_e32 v15, v0, v16
	v_pk_add_f32 v[6:7], v[12:13], v[0:1] neg_lo:[0,1] neg_hi:[0,1]
	v_pk_add_f32 v[0:1], v[12:13], v[0:1] op_sel_hi:[0,1]
	v_mov_b32_e32 v7, v1
	v_add_f32_e32 v11, v1, v22
	ds_write_b32 v26, v13
	v_pk_mul_f32 v[0:1], v[6:7], s[4:5]
	v_pk_fma_f32 v[12:13], v[6:7], s[4:5], v[10:11]
	v_pk_fma_f32 v[6:7], v[6:7], s[4:5], v[10:11] neg_lo:[1,0,0] neg_hi:[1,0,0]
	v_fma_f32 v16, v15, s14, -v0
	v_mov_b32_e32 v13, v7
	v_fma_f32 v1, v15, s15, -v10
	v_mov_b32_e32 v0, v7
	v_pk_add_f32 v[0:1], v[12:13], v[0:1]
	v_mul_f32_e32 v12, 0xbf08b237, v19
	v_mul_f32_e32 v6, 0x3f5ff5aa, v18
	v_fma_f32 v13, v14, s13, -v6
	v_fma_f32 v6, v18, s12, -v12
	v_fmac_f32_e32 v12, 0x3eae86e6, v14
	v_mul_f32_e32 v10, 0x3ee1c552, v17
	v_pk_add_f32 v[12:13], v[12:13], v[10:11] op_sel_hi:[1,0]
	v_fmac_f32_e32 v6, 0x3ee1c552, v17
	v_mad_i32_i24 v17, v122, 28, 0
	v_add_f32_e32 v10, v16, v7
	v_pk_add_f32 v[14:15], v[0:1], v[12:13]
	ds_write2_b32 v17, v14, v15 offset0:1 offset1:2
	v_pk_add_f32 v[14:15], v[10:11], v[6:7] neg_lo:[0,1] neg_hi:[0,1]
	v_pk_add_f32 v[6:7], v[10:11], v[6:7]
	s_movk_i32 s18, 0xffe8
	ds_write2_b32 v17, v14, v6 offset0:3 offset1:4
	v_pk_add_f32 v[6:7], v[0:1], v[12:13] neg_lo:[0,1] neg_hi:[0,1]
	v_mad_i32_i24 v123, v118, s18, v126
	v_mad_i32_i24 v1, v120, s18, v129
	s_load_dwordx2 s[2:3], s[2:3], 0x0
	ds_write_b32 v17, v11
	ds_write2_b32 v17, v7, v6 offset0:5 offset1:6
	s_waitcnt lgkmcnt(0)
	; wave barrier
	s_waitcnt lgkmcnt(0)
	v_add_u32_e32 v52, 0x400, v123
	v_add_u32_e32 v131, 0x600, v123
	;; [unrolled: 1-line block ×7, first 2 shown]
	v_mad_i32_i24 v0, v119, s18, v128
	v_add_u32_e32 v136, 0x1a00, v123
	v_add_u32_e32 v135, 0x200, v123
	;; [unrolled: 1-line block ×3, first 2 shown]
	ds_read_b32 v124, v1
	ds_read_b32 v125, v0
	ds_read_b32 v127, v123 offset:7440
	ds_read2_b32 v[10:11], v123 offset1:175
	ds_read2_b32 v[116:117], v52 offset0:94 offset1:149
	ds_read2_b32 v[96:97], v131 offset0:76 offset1:141
	;; [unrolled: 1-line block ×12, first 2 shown]
	ds_read2_b32 v[90:91], v130 offset1:55
	ds_read2_b32 v[86:87], v134 offset0:94 offset1:149
	v_mul_i32_i24_e32 v139, 28, v122
	v_cmp_gt_u32_e64 s[0:1], 10, v118
	v_mul_i32_i24_e32 v138, 0xffffffe8, v119
	v_mul_i32_i24_e32 v137, 0xffffffe8, v120
                                        ; implicit-def: $vgpr21
                                        ; implicit-def: $vgpr18
                                        ; implicit-def: $vgpr16
                                        ; implicit-def: $vgpr13
                                        ; implicit-def: $vgpr15
	s_and_saveexec_b64 s[10:11], s[0:1]
	s_cbranch_execz .LBB0_15
; %bb.14:
	v_mad_i32_i24 v0, v121, s18, v26
	ds_read_b32 v7, v0
	v_add_u32_e32 v0, 0x500, v123
	ds_read2_b32 v[20:21], v0 offset0:20 offset1:195
	v_add_u32_e32 v0, 0xa00, v123
	ds_read2_b32 v[18:19], v0 offset0:50 offset1:225
	ds_read2_b32 v[16:17], v132 offset0:16 offset1:191
	v_add_u32_e32 v0, 0x1500, v123
	ds_read2_b32 v[14:15], v0 offset0:46 offset1:221
	ds_read2_b32 v[12:13], v136 offset0:76 offset1:251
	s_waitcnt lgkmcnt(4)
	v_mov_b32_e32 v6, v20
.LBB0_15:
	s_or_b64 exec, exec, s[10:11]
	v_add_f32_e32 v64, v107, v73
	v_sub_f32_e32 v73, v74, v104
	v_sub_f32_e32 v74, v76, v100
	;; [unrolled: 1-line block ×3, first 2 shown]
	v_add_f32_e32 v20, v101, v77
	v_sub_f32_e32 v77, v74, v73
	v_add_f32_e32 v0, v105, v75
	v_add_f32_e32 v75, v73, v74
	v_sub_f32_e32 v101, v72, v74
	v_sub_f32_e32 v73, v73, v72
	v_mul_f32_e32 v74, 0xbf08b237, v77
	v_add_f32_e32 v1, v64, v0
	v_add_f32_e32 v104, v72, v75
	v_fma_f32 v100, v73, s12, -v74
	v_sub_f32_e32 v76, v0, v64
	v_mul_f32_e32 v72, 0x3ee1c552, v104
	v_fmac_f32_e32 v100, 0x3ee1c552, v104
	v_pk_add_f32 v[104:105], v[20:21], v[0:1] neg_lo:[0,1] neg_hi:[0,1]
	v_pk_add_f32 v[0:1], v[20:21], v[0:1] op_sel_hi:[0,1]
	v_sub_f32_e32 v64, v64, v20
	v_mov_b32_e32 v105, v1
	v_mul_f32_e32 v64, 0x3f4a47b2, v64
	v_add_f32_e32 v65, v1, v65
	v_pk_mul_f32 v[0:1], v[104:105], s[4:5]
	v_pk_fma_f32 v[106:107], v[104:105], s[4:5], v[64:65]
	v_pk_fma_f32 v[104:105], v[104:105], s[4:5], v[64:65] neg_lo:[1,0,0] neg_hi:[1,0,0]
	v_fma_f32 v0, v76, s14, -v0
	v_mul_f32_e32 v75, 0x3f5ff5aa, v73
	v_add_f32_e32 v0, v0, v105
	v_fma_f32 v77, v76, s15, -v64
	v_fmac_f32_e32 v74, 0x3eae86e6, v101
	v_fma_f32 v75, v101, s13, -v75
	v_mov_b32_e32 v107, v105
	v_mov_b32_e32 v76, v105
	v_pk_add_f32 v[104:105], v[0:1], v[100:101]
	v_pk_add_f32 v[100:101], v[0:1], v[100:101] neg_lo:[0,1] neg_hi:[0,1]
	v_add_f32_e32 v0, v79, v61
	v_sub_f32_e32 v60, v60, v78
	v_sub_f32_e32 v61, v62, v82
	v_pk_add_f32 v[76:77], v[106:107], v[76:77]
	v_pk_add_f32 v[72:73], v[74:75], v[72:73] op_sel_hi:[1,0]
	v_add_f32_e32 v59, v81, v59
	v_sub_f32_e32 v58, v58, v80
	v_add_f32_e32 v20, v83, v63
	v_add_f32_e32 v62, v60, v61
	v_sub_f32_e32 v63, v61, v60
	v_pk_add_f32 v[74:75], v[76:77], v[72:73] neg_lo:[0,1] neg_hi:[0,1]
	v_pk_add_f32 v[72:73], v[72:73], v[76:77]
	v_add_f32_e32 v1, v59, v0
	v_sub_f32_e32 v76, v0, v59
	v_sub_f32_e32 v59, v59, v20
	;; [unrolled: 1-line block ×3, first 2 shown]
	v_add_f32_e32 v78, v58, v62
	v_mul_f32_e32 v62, 0xbf08b237, v63
	v_sub_f32_e32 v61, v58, v61
	v_mul_f32_e32 v58, 0x3f4a47b2, v59
	v_mul_f32_e32 v59, 0x3f5ff5aa, v64
	v_fma_f32 v64, v64, s12, -v62
	v_mul_f32_e32 v60, 0x3ee1c552, v78
	v_fmac_f32_e32 v64, 0x3ee1c552, v78
	v_pk_add_f32 v[78:79], v[20:21], v[0:1] neg_lo:[0,1] neg_hi:[0,1]
	v_pk_add_f32 v[0:1], v[20:21], v[0:1] op_sel_hi:[0,1]
	v_mov_b32_e32 v79, v1
	v_fma_f32 v63, v61, s13, -v59
	v_add_f32_e32 v59, v1, v53
	v_pk_mul_f32 v[0:1], v[78:79], s[4:5]
	v_pk_fma_f32 v[80:81], v[78:79], s[4:5], v[58:59]
	v_pk_fma_f32 v[78:79], v[78:79], s[4:5], v[58:59] neg_lo:[1,0,0] neg_hi:[1,0,0]
	v_fma_f32 v0, v76, s14, -v0
	v_fma_f32 v77, v76, s15, -v58
	v_mov_b32_e32 v81, v79
	v_add_f32_e32 v0, v0, v79
	v_mov_b32_e32 v76, v79
	v_pk_add_f32 v[76:77], v[80:81], v[76:77]
	v_pk_add_f32 v[78:79], v[0:1], v[64:65]
	v_pk_add_f32 v[80:81], v[0:1], v[64:65] neg_lo:[0,1] neg_hi:[0,1]
	v_add_f32_e32 v49, v71, v49
	v_add_f32_e32 v0, v69, v51
	v_sub_f32_e32 v48, v48, v70
	v_sub_f32_e32 v50, v50, v68
	v_add_f32_e32 v20, v67, v55
	v_sub_f32_e32 v51, v54, v66
	v_add_f32_e32 v1, v49, v0
	v_sub_f32_e32 v53, v0, v49
	v_sub_f32_e32 v49, v49, v20
	v_add_f32_e32 v54, v50, v51
	v_sub_f32_e32 v58, v50, v48
	v_pk_add_f32 v[68:69], v[20:21], v[0:1] neg_lo:[0,1] neg_hi:[0,1]
	v_pk_add_f32 v[0:1], v[20:21], v[0:1] op_sel_hi:[0,1]
	v_sub_f32_e32 v55, v51, v50
	v_sub_f32_e32 v51, v48, v51
	v_add_f32_e32 v64, v48, v54
	v_mul_f32_e32 v48, 0x3f4a47b2, v49
	v_mul_f32_e32 v49, 0x3f5ff5aa, v58
	v_mov_b32_e32 v69, v1
	v_mul_f32_e32 v54, 0xbf08b237, v55
	v_fma_f32 v55, v51, s13, -v49
	v_add_f32_e32 v49, v1, v35
	v_pk_mul_f32 v[0:1], v[68:69], s[4:5]
	v_fma_f32 v58, v58, s12, -v54
	v_pk_fma_f32 v[70:71], v[68:69], s[4:5], v[48:49]
	v_pk_fma_f32 v[68:69], v[68:69], s[4:5], v[48:49] neg_lo:[1,0,0] neg_hi:[1,0,0]
	v_fma_f32 v0, v53, s14, -v0
	v_fma_f32 v67, v53, s15, -v48
	v_fmac_f32_e32 v58, 0x3ee1c552, v64
	v_mov_b32_e32 v71, v69
	v_add_f32_e32 v0, v0, v69
	v_mov_b32_e32 v66, v69
	v_pk_add_f32 v[66:67], v[70:71], v[66:67]
	v_pk_add_f32 v[68:69], v[0:1], v[58:59]
	v_pk_add_f32 v[70:71], v[0:1], v[58:59] neg_lo:[0,1] neg_hi:[0,1]
	v_add_f32_e32 v31, v57, v31
	v_add_f32_e32 v0, v47, v33
	v_sub_f32_e32 v30, v30, v56
	v_sub_f32_e32 v32, v32, v46
	v_add_f32_e32 v20, v45, v37
	v_sub_f32_e32 v33, v36, v44
	v_add_f32_e32 v1, v31, v0
	v_sub_f32_e32 v35, v0, v31
	v_sub_f32_e32 v31, v31, v20
	v_add_f32_e32 v36, v32, v33
	v_sub_f32_e32 v44, v32, v30
	v_pk_add_f32 v[56:57], v[20:21], v[0:1] neg_lo:[0,1] neg_hi:[0,1]
	v_pk_add_f32 v[0:1], v[20:21], v[0:1] op_sel_hi:[0,1]
	v_mul_f32_e32 v50, 0x3ee1c552, v64
	v_fmac_f32_e32 v54, 0x3eae86e6, v51
	v_sub_f32_e32 v37, v33, v32
	v_sub_f32_e32 v33, v30, v33
	v_add_f32_e32 v47, v30, v36
	v_mul_f32_e32 v30, 0x3f4a47b2, v31
	v_mul_f32_e32 v31, 0x3f5ff5aa, v44
	v_mov_b32_e32 v57, v1
	v_pk_add_f32 v[50:51], v[54:55], v[50:51] op_sel_hi:[1,0]
	v_mul_f32_e32 v36, 0xbf08b237, v37
	v_fma_f32 v37, v33, s13, -v31
	v_add_f32_e32 v31, v1, v27
	v_pk_mul_f32 v[0:1], v[56:57], s[4:5]
	v_pk_add_f32 v[54:55], v[66:67], v[50:51] neg_lo:[0,1] neg_hi:[0,1]
	v_pk_add_f32 v[50:51], v[50:51], v[66:67]
	v_fma_f32 v46, v44, s12, -v36
	v_pk_fma_f32 v[66:67], v[56:57], s[4:5], v[30:31]
	v_pk_fma_f32 v[56:57], v[56:57], s[4:5], v[30:31] neg_lo:[1,0,0] neg_hi:[1,0,0]
	v_fma_f32 v0, v35, s14, -v0
	v_fmac_f32_e32 v46, 0x3ee1c552, v47
	v_add_f32_e32 v0, v0, v57
	v_mul_f32_e32 v32, 0x3ee1c552, v47
	v_mov_b32_e32 v67, v57
	v_mov_b32_e32 v44, v57
	v_pk_add_f32 v[56:57], v[0:1], v[46:47]
	v_pk_add_f32 v[46:47], v[0:1], v[46:47] neg_lo:[0,1] neg_hi:[0,1]
	v_add_f32_e32 v9, v43, v9
	v_sub_f32_e32 v20, v8, v42
	v_add_f32_e32 v0, v41, v25
	v_add_f32_e32 v8, v39, v29
	v_sub_f32_e32 v24, v24, v40
	v_sub_f32_e32 v25, v28, v38
	v_add_f32_e32 v1, v9, v0
	v_sub_f32_e32 v27, v0, v9
	v_sub_f32_e32 v9, v9, v8
	v_fma_f32 v45, v35, s15, -v30
	v_add_f32_e32 v28, v24, v25
	v_sub_f32_e32 v29, v25, v24
	v_sub_f32_e32 v30, v24, v20
	v_mul_f32_e32 v24, 0x3f4a47b2, v9
	v_fma_f32 v9, v27, s15, -v24
	v_pk_add_f32 v[38:39], v[8:9], v[0:1] neg_lo:[0,1] neg_hi:[0,1]
	v_pk_add_f32 v[0:1], v[8:9], v[0:1] op_sel_hi:[0,1]
	v_sub_f32_e32 v25, v20, v25
	v_add_f32_e32 v35, v20, v28
	v_mul_f32_e32 v28, 0xbf08b237, v29
	v_mul_f32_e32 v29, 0x3f5ff5aa, v30
	v_mov_b32_e32 v39, v1
	v_fma_f32 v30, v30, s12, -v28
	v_fmac_f32_e32 v28, 0x3eae86e6, v25
	v_fma_f32 v29, v25, s13, -v29
	v_add_f32_e32 v25, v1, v23
	v_pk_mul_f32 v[0:1], v[38:39], s[4:5]
	v_fmac_f32_e32 v36, 0x3eae86e6, v33
	v_pk_fma_f32 v[40:41], v[38:39], s[4:5], v[24:25]
	v_pk_fma_f32 v[38:39], v[38:39], s[4:5], v[24:25] neg_lo:[1,0,0] neg_hi:[1,0,0]
	v_fma_f32 v0, v27, s14, -v0
	v_fmac_f32_e32 v62, 0x3eae86e6, v61
	v_pk_add_f32 v[44:45], v[66:67], v[44:45]
	v_pk_add_f32 v[32:33], v[36:37], v[32:33] op_sel_hi:[1,0]
	v_mul_f32_e32 v20, 0x3ee1c552, v35
	v_fmac_f32_e32 v30, 0x3ee1c552, v35
	v_mov_b32_e32 v41, v39
	v_add_f32_e32 v0, v0, v39
	v_mov_b32_e32 v8, v39
	v_pk_add_f32 v[60:61], v[62:63], v[60:61] op_sel_hi:[1,0]
	v_pk_add_f32 v[36:37], v[44:45], v[32:33] neg_lo:[0,1] neg_hi:[0,1]
	v_pk_add_f32 v[32:33], v[32:33], v[44:45]
	v_pk_add_f32 v[8:9], v[40:41], v[8:9]
	v_pk_add_f32 v[28:29], v[28:29], v[20:21] op_sel_hi:[1,0]
	v_pk_add_f32 v[40:41], v[0:1], v[30:31]
	v_pk_add_f32 v[42:43], v[0:1], v[30:31] neg_lo:[0,1] neg_hi:[0,1]
	v_add_u32_e32 v20, 0, v139
	v_pk_add_f32 v[62:63], v[76:77], v[60:61] neg_lo:[0,1] neg_hi:[0,1]
	v_pk_add_f32 v[60:61], v[60:61], v[76:77]
	v_pk_add_f32 v[38:39], v[8:9], v[28:29] neg_lo:[0,1] neg_hi:[0,1]
	v_pk_add_f32 v[0:1], v[28:29], v[8:9]
	s_waitcnt lgkmcnt(0)
	; wave barrier
	s_waitcnt lgkmcnt(0)
	ds_write_b32 v126, v65
	ds_write2_b32 v126, v74, v75 offset0:1 offset1:2
	ds_write2_b32 v126, v104, v100 offset0:3 offset1:4
	ds_write2_b32 v126, v73, v72 offset0:5 offset1:6
	ds_write_b32 v128, v59
	ds_write2_b32 v128, v62, v63 offset0:1 offset1:2
	ds_write2_b32 v128, v78, v80 offset0:3 offset1:4
	ds_write2_b32 v128, v61, v60 offset0:5 offset1:6
	;; [unrolled: 4-line block ×5, first 2 shown]
	s_waitcnt lgkmcnt(0)
	; wave barrier
	s_waitcnt lgkmcnt(0)
	ds_read2_b32 v[8:9], v123 offset1:175
	ds_read2_b32 v[58:59], v52 offset0:94 offset1:149
	ds_read2_b32 v[42:43], v131 offset0:76 offset1:141
	ds_read2_b32 v[56:57], v22 offset0:188 offset1:243
	ds_read2_b32 v[40:41], v34 offset0:42 offset1:107
	ds_read2_b32 v[54:55], v132 offset0:26 offset1:81
	ds_read2_b32 v[36:37], v132 offset0:136 offset1:201
	ds_read2_b32 v[52:53], v130 offset0:120 offset1:175
	ds_read2_b32 v[32:33], v133 offset0:102 offset1:167
	ds_read2_b32 v[50:51], v136 offset0:86 offset1:141
	ds_read2_b32 v[48:49], v135 offset0:102 offset1:157
	ds_read2_b32 v[46:47], v22 offset0:68 offset1:123
	ds_read2_b32 v[44:45], v34 offset0:162 offset1:217
	ds_read2_b32 v[38:39], v130 offset1:55
	ds_read2_b32 v[34:35], v134 offset0:94 offset1:149
	v_add_u32_e32 v77, v129, v137
	v_add_u32_e32 v65, v128, v138
	ds_read_b32 v20, v77
	ds_read_b32 v60, v65
	ds_read_b32 v106, v123 offset:7440
	v_lshl_add_u32 v72, v121, 2, 0
                                        ; implicit-def: $vgpr31
                                        ; implicit-def: $vgpr28
                                        ; implicit-def: $vgpr26
                                        ; implicit-def: $vgpr23
                                        ; implicit-def: $vgpr25
	s_and_saveexec_b64 s[4:5], s[0:1]
	s_cbranch_execz .LBB0_17
; %bb.16:
	v_add_u32_e32 v0, 0x500, v123
	ds_read2_b32 v[30:31], v0 offset0:20 offset1:195
	v_add_u32_e32 v0, 0xa00, v123
	ds_read2_b32 v[28:29], v0 offset0:50 offset1:225
	;; [unrolled: 2-line block ×4, first 2 shown]
	v_add_u32_e32 v0, 0x1a00, v123
	ds_read_b32 v1, v72
	ds_read2_b32 v[22:23], v0 offset0:76 offset1:251
	s_waitcnt lgkmcnt(5)
	v_mov_b32_e32 v0, v30
.LBB0_17:
	s_or_b64 exec, exec, s[4:5]
	v_mov_b32_e32 v79, 37
	v_mul_lo_u16_sdwa v30, v118, v79 dst_sel:DWORD dst_unused:UNUSED_PAD src0_sel:BYTE_0 src1_sel:DWORD
	v_sub_u16_sdwa v61, v118, v30 dst_sel:DWORD dst_unused:UNUSED_PAD src0_sel:DWORD src1_sel:BYTE_1
	v_lshrrev_b16_e32 v61, 1, v61
	v_and_b32_e32 v61, 0x7f, v61
	v_add_u16_sdwa v30, v61, v30 dst_sel:DWORD dst_unused:UNUSED_PAD src0_sel:DWORD src1_sel:BYTE_1
	v_lshrrev_b16_e32 v107, 2, v30
	v_mul_lo_u16_e32 v30, 7, v107
	v_sub_u16_e32 v126, v118, v30
	v_mov_b32_e32 v76, 10
	v_mul_u32_u24_sdwa v30, v126, v76 dst_sel:DWORD dst_unused:UNUSED_PAD src0_sel:BYTE_0 src1_sel:DWORD
	v_lshlrev_b32_e32 v64, 3, v30
	global_load_dwordx4 v[128:131], v64, s[8:9] offset:48
	global_load_dwordx4 v[132:135], v64, s[8:9] offset:32
	;; [unrolled: 1-line block ×3, first 2 shown]
	global_load_dwordx4 v[68:71], v64, s[8:9]
	s_mov_b32 s12, 0x3f575c64
	s_mov_b32 s10, 0x3ed4b147
	s_mov_b32 s11, 0xbe11bafb
	s_mov_b32 s13, 0xbf27a4f4
	s_mov_b32 s14, 0xbf75a155
	v_mul_u32_u24_e32 v107, 0x134, v107
	s_waitcnt vmcnt(3)
	v_mul_f32_e32 v67, v110, v131
	s_waitcnt lgkmcnt(10)
	v_fmac_f32_e32 v67, v52, v130
	s_waitcnt vmcnt(1)
	v_mul_f32_e32 v61, v114, v139
	s_waitcnt vmcnt(0)
	v_mul_f32_e32 v80, v11, v69
	v_mul_f32_e32 v30, v9, v69
	v_fmac_f32_e32 v80, v9, v68
	v_mul_f32_e32 v9, v58, v71
	v_fma_f32 v78, v11, v68, -v30
	v_fma_f32 v68, v116, v70, -v9
	v_mul_f32_e32 v9, v43, v137
	v_mul_f32_e32 v69, v116, v71
	v_fma_f32 v62, v97, v136, -v9
	v_mul_f32_e32 v63, v97, v137
	v_mul_f32_e32 v9, v56, v139
	v_fmac_f32_e32 v61, v56, v138
	v_mul_f32_e32 v11, v93, v133
	v_mul_f32_e32 v56, v89, v129
	v_fmac_f32_e32 v69, v58, v70
	v_fmac_f32_e32 v63, v43, v136
	v_fma_f32 v58, v114, v138, -v9
	v_mul_f32_e32 v9, v41, v133
	v_fmac_f32_e32 v11, v41, v132
	v_mul_f32_e32 v41, v112, v135
	v_mul_f32_e32 v43, v37, v129
	v_fmac_f32_e32 v56, v37, v128
	v_mul_f32_e32 v37, v52, v131
	v_mul_f32_e32 v30, v54, v135
	v_fmac_f32_e32 v41, v54, v134
	v_fma_f32 v54, v89, v128, -v43
	v_fma_f32 v66, v110, v130, -v37
	global_load_dwordx4 v[128:131], v64, s[8:9] offset:64
	v_fma_f32 v9, v93, v132, -v9
	v_fma_f32 v30, v112, v134, -v30
	s_waitcnt vmcnt(0) lgkmcnt(9)
	v_mul_f32_e32 v37, v33, v129
	v_fma_f32 v89, v85, v128, -v37
	v_mul_f32_e32 v85, v85, v129
	v_fmac_f32_e32 v85, v33, v128
	s_waitcnt lgkmcnt(8)
	v_mul_f32_e32 v33, v50, v131
	v_fma_f32 v101, v108, v130, -v33
	v_mul_lo_u16_sdwa v33, v119, v79 dst_sel:DWORD dst_unused:UNUSED_PAD src0_sel:BYTE_0 src1_sel:DWORD
	v_sub_u16_sdwa v37, v119, v33 dst_sel:DWORD dst_unused:UNUSED_PAD src0_sel:DWORD src1_sel:BYTE_1
	v_lshrrev_b16_e32 v37, 1, v37
	v_and_b32_e32 v37, 0x7f, v37
	v_add_u16_sdwa v33, v37, v33 dst_sel:DWORD dst_unused:UNUSED_PAD src0_sel:DWORD src1_sel:BYTE_1
	v_mul_f32_e32 v104, v108, v131
	v_lshrrev_b16_e32 v108, 2, v33
	v_mul_lo_u16_e32 v33, 7, v108
	v_sub_u16_e32 v110, v119, v33
	v_mul_u32_u24_sdwa v33, v110, v76 dst_sel:DWORD dst_unused:UNUSED_PAD src0_sel:BYTE_0 src1_sel:DWORD
	v_lshlrev_b32_e32 v33, 3, v33
	v_fmac_f32_e32 v104, v50, v130
	global_load_dwordx4 v[128:131], v33, s[8:9] offset:48
	global_load_dwordx4 v[132:135], v33, s[8:9] offset:32
	;; [unrolled: 1-line block ×3, first 2 shown]
	global_load_dwordx4 v[140:143], v33, s[8:9]
	s_waitcnt vmcnt(3) lgkmcnt(4)
	v_mul_f32_e32 v52, v38, v129
	s_waitcnt vmcnt(2)
	v_mul_f32_e32 v43, v94, v133
	s_waitcnt vmcnt(1)
	;; [unrolled: 2-line block ×3, first 2 shown]
	v_mul_f32_e32 v37, v48, v141
	v_fma_f32 v93, v102, v140, -v37
	v_mul_f32_e32 v37, v59, v143
	v_fma_f32 v74, v117, v142, -v37
	v_mul_f32_e32 v75, v117, v143
	v_mul_f32_e32 v37, v46, v137
	;; [unrolled: 1-line block ×3, first 2 shown]
	v_fmac_f32_e32 v75, v59, v142
	v_fma_f32 v59, v98, v136, -v37
	v_mul_f32_e32 v37, v57, v139
	v_fmac_f32_e32 v97, v48, v140
	v_fma_f32 v48, v115, v138, -v37
	v_mul_f32_e32 v37, v44, v133
	v_fmac_f32_e32 v43, v44, v132
	v_mul_f32_e32 v44, v55, v135
	v_fmac_f32_e32 v64, v46, v136
	v_mul_f32_e32 v50, v115, v139
	v_fma_f32 v44, v113, v134, -v44
	v_mul_f32_e32 v46, v113, v135
	global_load_dwordx4 v[112:115], v33, s[8:9] offset:64
	v_fmac_f32_e32 v46, v55, v134
	v_fma_f32 v52, v90, v128, -v52
	v_mul_f32_e32 v55, v90, v129
	v_fma_f32 v37, v94, v132, -v37
	v_fmac_f32_e32 v55, v38, v128
	v_mul_f32_e32 v38, v53, v131
	v_mul_f32_e32 v73, v111, v131
	v_fmac_f32_e32 v50, v57, v138
	v_fma_f32 v71, v111, v130, -v38
	v_fmac_f32_e32 v73, v53, v130
	s_waitcnt vmcnt(0) lgkmcnt(3)
	v_mul_f32_e32 v33, v34, v113
	v_fma_f32 v90, v86, v112, -v33
	v_mul_f32_e32 v33, v51, v115
	v_mul_f32_e32 v94, v86, v113
	v_fma_f32 v102, v109, v114, -v33
	v_mul_lo_u16_sdwa v33, v120, v79 dst_sel:DWORD dst_unused:UNUSED_PAD src0_sel:BYTE_0 src1_sel:DWORD
	v_fmac_f32_e32 v94, v34, v112
	v_sub_u16_sdwa v34, v120, v33 dst_sel:DWORD dst_unused:UNUSED_PAD src0_sel:DWORD src1_sel:BYTE_1
	v_lshrrev_b16_e32 v34, 1, v34
	v_and_b32_e32 v34, 0x7f, v34
	v_mul_f32_e32 v105, v109, v115
	v_add_u16_sdwa v33, v34, v33 dst_sel:DWORD dst_unused:UNUSED_PAD src0_sel:DWORD src1_sel:BYTE_1
	v_fmac_f32_e32 v105, v51, v114
	v_lshrrev_b16_e32 v114, 2, v33
	v_mul_lo_u16_e32 v33, 7, v114
	v_sub_u16_e32 v115, v120, v33
	v_mul_u32_u24_sdwa v33, v115, v76 dst_sel:DWORD dst_unused:UNUSED_PAD src0_sel:BYTE_0 src1_sel:DWORD
	v_lshlrev_b32_e32 v33, 3, v33
	global_load_dwordx4 v[128:131], v33, s[8:9] offset:48
	global_load_dwordx4 v[132:135], v33, s[8:9] offset:32
	;; [unrolled: 1-line block ×3, first 2 shown]
	global_load_dwordx4 v[140:143], v33, s[8:9]
	s_waitcnt vmcnt(3)
	v_mul_f32_e32 v81, v84, v131
	s_waitcnt vmcnt(2)
	v_mul_f32_e32 v38, v95, v133
	;; [unrolled: 2-line block ×4, first 2 shown]
	v_fma_f32 v98, v103, v140, -v34
	v_mul_f32_e32 v34, v42, v143
	v_fma_f32 v82, v96, v142, -v34
	v_mul_f32_e32 v34, v47, v137
	v_mul_f32_e32 v100, v103, v141
	;; [unrolled: 1-line block ×3, first 2 shown]
	v_fma_f32 v53, v99, v136, -v34
	v_mul_f32_e32 v34, v40, v139
	v_fmac_f32_e32 v100, v49, v140
	v_fmac_f32_e32 v83, v42, v142
	;; [unrolled: 1-line block ×3, first 2 shown]
	v_fma_f32 v47, v92, v138, -v34
	v_mul_f32_e32 v49, v92, v139
	v_mul_f32_e32 v34, v45, v133
	v_fmac_f32_e32 v38, v45, v132
	v_mul_f32_e32 v42, v88, v135
	v_mul_f32_e32 v45, v91, v129
	v_fmac_f32_e32 v49, v40, v138
	v_mul_f32_e32 v40, v36, v135
	v_fmac_f32_e32 v42, v36, v134
	v_mul_f32_e32 v36, v39, v129
	v_fmac_f32_e32 v45, v39, v128
	v_mul_f32_e32 v39, v32, v131
	v_fma_f32 v36, v91, v128, -v36
	v_fma_f32 v39, v84, v130, -v39
	v_fmac_f32_e32 v81, v32, v130
	global_load_dwordx4 v[128:131], v33, s[8:9] offset:64
	v_fma_f32 v40, v88, v134, -v40
	v_fma_f32 v34, v95, v132, -v34
	s_waitcnt vmcnt(0)
	v_mul_f32_e32 v32, v35, v129
	v_fma_f32 v88, v87, v128, -v32
	v_mul_f32_e32 v91, v87, v129
	s_waitcnt lgkmcnt(0)
	v_mul_f32_e32 v32, v106, v131
	v_fmac_f32_e32 v91, v35, v128
	v_fma_f32 v35, v127, v130, -v32
	v_mul_lo_u16_sdwa v32, v121, v79 dst_sel:DWORD dst_unused:UNUSED_PAD src0_sel:BYTE_0 src1_sel:DWORD
	v_sub_u16_sdwa v33, v121, v32 dst_sel:DWORD dst_unused:UNUSED_PAD src0_sel:DWORD src1_sel:BYTE_1
	v_lshrrev_b16_e32 v33, 1, v33
	v_and_b32_e32 v33, 0x7f, v33
	v_add_u16_sdwa v32, v33, v32 dst_sel:DWORD dst_unused:UNUSED_PAD src0_sel:DWORD src1_sel:BYTE_1
	v_lshrrev_b16_e32 v32, 2, v32
	v_mul_lo_u16_e32 v33, 7, v32
	v_sub_u16_e32 v33, v121, v33
	v_mul_u32_u24_sdwa v51, v33, v76 dst_sel:DWORD dst_unused:UNUSED_PAD src0_sel:BYTE_0 src1_sel:DWORD
	v_mul_f32_e32 v99, v127, v131
	v_lshlrev_b32_e32 v109, 3, v51
	v_fmac_f32_e32 v99, v106, v130
	global_load_dwordx4 v[128:131], v109, s[8:9] offset:48
	global_load_dwordx4 v[132:135], v109, s[8:9] offset:32
	;; [unrolled: 1-line block ×3, first 2 shown]
	global_load_dwordx4 v[140:143], v109, s[8:9]
	s_waitcnt vmcnt(2)
	v_mul_f32_e32 v57, v17, v135
	s_waitcnt vmcnt(1)
	v_mul_f32_e32 v87, v18, v137
	;; [unrolled: 2-line block ×3, first 2 shown]
	v_mul_f32_e32 v51, v0, v141
	v_fmac_f32_e32 v106, v0, v140
	v_mul_f32_e32 v0, v31, v143
	v_fma_f32 v95, v21, v142, -v0
	v_mul_f32_e32 v0, v28, v137
	v_fma_f32 v86, v18, v136, -v0
	;; [unrolled: 2-line block ×4, first 2 shown]
	v_mul_f32_e32 v0, v26, v133
	v_mul_f32_e32 v6, v27, v135
	v_fmac_f32_e32 v96, v31, v142
	v_mul_f32_e32 v79, v19, v139
	v_fma_f32 v0, v16, v132, -v0
	v_mul_f32_e32 v31, v16, v133
	v_fma_f32 v51, v17, v134, -v6
	global_load_dwordx4 v[16:19], v109, s[8:9] offset:64
	v_mul_f32_e32 v6, v24, v129
	v_fma_f32 v84, v14, v128, -v6
	v_mul_f32_e32 v6, v25, v131
	v_fma_f32 v92, v15, v130, -v6
	v_mul_f32_e32 v14, v14, v129
	v_mul_f32_e32 v15, v15, v131
	v_fmac_f32_e32 v14, v24, v128
	v_fmac_f32_e32 v15, v25, v130
	;; [unrolled: 1-line block ×6, first 2 shown]
	s_waitcnt lgkmcnt(0)
	; wave barrier
	s_waitcnt vmcnt(0)
	v_mul_f32_e32 v6, v22, v17
	v_fma_f32 v109, v12, v16, -v6
	v_mul_f32_e32 v6, v23, v19
	v_mul_f32_e32 v111, v12, v17
	v_fma_f32 v112, v13, v18, -v6
	v_mul_f32_e32 v113, v13, v19
	v_sub_f32_e32 v13, v80, v104
	v_fmac_f32_e32 v111, v22, v16
	v_fmac_f32_e32 v113, v23, v18
	v_add_f32_e32 v12, v78, v101
	v_mul_f32_e32 v16, 0xbf0a6770, v13
	v_mul_f32_e32 v18, 0xbf68dda4, v13
	;; [unrolled: 1-line block ×5, first 2 shown]
	v_fma_f32 v17, v12, s12, -v16
	v_fmac_f32_e32 v16, 0x3f575c64, v12
	v_fma_f32 v19, v12, s10, -v18
	v_fmac_f32_e32 v18, 0x3ed4b147, v12
	;; [unrolled: 2-line block ×5, first 2 shown]
	v_add_f32_e32 v6, v10, v78
	v_add_f32_e32 v17, v10, v17
	;; [unrolled: 1-line block ×11, first 2 shown]
	v_sub_f32_e32 v13, v69, v85
	v_add_f32_e32 v12, v68, v89
	v_mul_f32_e32 v26, 0xbf68dda4, v13
	v_fma_f32 v27, v12, s10, -v26
	v_fmac_f32_e32 v26, 0x3ed4b147, v12
	v_add_f32_e32 v16, v26, v16
	v_mul_f32_e32 v26, 0xbf4178ce, v13
	v_add_f32_e32 v17, v27, v17
	v_fma_f32 v27, v12, s13, -v26
	v_fmac_f32_e32 v26, 0xbf27a4f4, v12
	v_add_f32_e32 v18, v26, v18
	v_mul_f32_e32 v26, 0x3e903f40, v13
	v_add_f32_e32 v19, v27, v19
	v_fma_f32 v27, v12, s14, -v26
	v_fmac_f32_e32 v26, 0xbf75a155, v12
	v_add_f32_e32 v21, v26, v21
	v_mul_f32_e32 v26, 0x3f7d64f0, v13
	v_add_f32_e32 v22, v27, v22
	v_fma_f32 v27, v12, s11, -v26
	v_fmac_f32_e32 v26, 0xbe11bafb, v12
	v_mul_f32_e32 v13, 0x3f0a6770, v13
	v_add_f32_e32 v23, v26, v23
	v_fma_f32 v26, v12, s12, -v13
	v_fmac_f32_e32 v13, 0x3f575c64, v12
	v_add_f32_e32 v10, v13, v10
	v_sub_f32_e32 v13, v63, v67
	v_add_f32_e32 v25, v26, v25
	v_add_f32_e32 v12, v62, v66
	v_mul_f32_e32 v26, 0xbf7d64f0, v13
	v_add_f32_e32 v24, v27, v24
	v_fma_f32 v27, v12, s11, -v26
	v_fmac_f32_e32 v26, 0xbe11bafb, v12
	v_add_f32_e32 v16, v26, v16
	v_mul_f32_e32 v26, 0x3e903f40, v13
	v_add_f32_e32 v17, v27, v17
	v_fma_f32 v27, v12, s14, -v26
	v_fmac_f32_e32 v26, 0xbf75a155, v12
	v_add_f32_e32 v18, v26, v18
	v_mul_f32_e32 v26, 0x3f68dda4, v13
	v_add_f32_e32 v19, v27, v19
	v_fma_f32 v27, v12, s10, -v26
	v_fmac_f32_e32 v26, 0x3ed4b147, v12
	v_add_f32_e32 v21, v26, v21
	v_mul_f32_e32 v26, 0xbf0a6770, v13
	v_add_f32_e32 v22, v27, v22
	v_fma_f32 v27, v12, s12, -v26
	v_fmac_f32_e32 v26, 0x3f575c64, v12
	v_mul_f32_e32 v13, 0xbf4178ce, v13
	v_add_f32_e32 v23, v26, v23
	v_fma_f32 v26, v12, s13, -v13
	v_fmac_f32_e32 v13, 0xbf27a4f4, v12
	v_add_f32_e32 v10, v13, v10
	v_sub_f32_e32 v13, v61, v56
	v_add_f32_e32 v25, v26, v25
	v_add_f32_e32 v12, v58, v54
	v_mul_f32_e32 v26, 0xbf4178ce, v13
	v_add_f32_e32 v24, v27, v24
	;; [unrolled: 27-line block ×3, first 2 shown]
	v_fma_f32 v27, v12, s14, -v26
	v_fmac_f32_e32 v26, 0xbf75a155, v12
	v_add_f32_e32 v16, v26, v16
	v_mul_f32_e32 v26, 0x3f0a6770, v13
	v_add_f32_e32 v17, v27, v17
	v_fma_f32 v27, v12, s12, -v26
	v_fmac_f32_e32 v26, 0x3f575c64, v12
	v_add_f32_e32 v18, v26, v18
	v_mul_f32_e32 v26, 0xbf4178ce, v13
	v_add_f32_e32 v19, v27, v19
	;; [unrolled: 5-line block ×3, first 2 shown]
	v_fma_f32 v27, v12, s10, -v26
	v_fmac_f32_e32 v26, 0x3ed4b147, v12
	v_mul_f32_e32 v13, 0xbf7d64f0, v13
	v_add_f32_e32 v23, v26, v23
	v_fma_f32 v26, v12, s11, -v13
	v_fmac_f32_e32 v13, 0xbe11bafb, v12
	v_add_f32_e32 v12, v13, v10
	v_add_f32_e32 v10, v125, v93
	;; [unrolled: 1-line block ×11, first 2 shown]
	v_sub_f32_e32 v26, v97, v105
	v_add_f32_e32 v24, v27, v24
	v_add_f32_e32 v13, v10, v102
	;; [unrolled: 1-line block ×3, first 2 shown]
	v_mul_f32_e32 v27, 0xbf0a6770, v26
	v_mul_f32_e32 v29, 0xbf68dda4, v26
	;; [unrolled: 1-line block ×5, first 2 shown]
	v_fma_f32 v28, v10, s12, -v27
	v_fmac_f32_e32 v27, 0x3f575c64, v10
	v_fma_f32 v116, v10, s10, -v29
	v_fmac_f32_e32 v29, 0x3ed4b147, v10
	;; [unrolled: 2-line block ×5, first 2 shown]
	v_add_f32_e32 v28, v125, v28
	v_add_f32_e32 v27, v125, v27
	;; [unrolled: 1-line block ×10, first 2 shown]
	v_sub_f32_e32 v125, v75, v94
	v_add_f32_e32 v26, v74, v90
	v_mul_f32_e32 v131, 0xbf68dda4, v125
	v_fma_f32 v132, v26, s10, -v131
	v_fmac_f32_e32 v131, 0x3ed4b147, v26
	v_add_f32_e32 v27, v131, v27
	v_mul_f32_e32 v131, 0xbf4178ce, v125
	v_add_f32_e32 v28, v132, v28
	v_fma_f32 v132, v26, s13, -v131
	v_fmac_f32_e32 v131, 0xbf27a4f4, v26
	v_add_f32_e32 v29, v131, v29
	v_mul_f32_e32 v131, 0x3e903f40, v125
	v_add_f32_e32 v116, v132, v116
	v_fma_f32 v132, v26, s14, -v131
	v_fmac_f32_e32 v131, 0xbf75a155, v26
	v_add_f32_e32 v117, v131, v117
	v_mul_f32_e32 v131, 0x3f7d64f0, v125
	v_add_f32_e32 v127, v132, v127
	v_fma_f32 v132, v26, s11, -v131
	v_fmac_f32_e32 v131, 0xbe11bafb, v26
	v_mul_f32_e32 v125, 0x3f0a6770, v125
	v_add_f32_e32 v128, v131, v128
	v_fma_f32 v131, v26, s12, -v125
	v_fmac_f32_e32 v125, 0x3f575c64, v26
	v_add_f32_e32 v10, v125, v10
	v_sub_f32_e32 v125, v64, v73
	v_add_f32_e32 v130, v131, v130
	v_add_f32_e32 v26, v59, v71
	v_mul_f32_e32 v131, 0xbf7d64f0, v125
	v_add_f32_e32 v129, v132, v129
	v_fma_f32 v132, v26, s11, -v131
	v_fmac_f32_e32 v131, 0xbe11bafb, v26
	v_add_f32_e32 v27, v131, v27
	v_mul_f32_e32 v131, 0x3e903f40, v125
	v_add_f32_e32 v28, v132, v28
	v_fma_f32 v132, v26, s14, -v131
	v_fmac_f32_e32 v131, 0xbf75a155, v26
	v_add_f32_e32 v29, v131, v29
	v_mul_f32_e32 v131, 0x3f68dda4, v125
	v_add_f32_e32 v116, v132, v116
	v_fma_f32 v132, v26, s10, -v131
	v_fmac_f32_e32 v131, 0x3ed4b147, v26
	v_add_f32_e32 v117, v131, v117
	v_mul_f32_e32 v131, 0xbf0a6770, v125
	v_add_f32_e32 v127, v132, v127
	v_fma_f32 v132, v26, s12, -v131
	v_fmac_f32_e32 v131, 0x3f575c64, v26
	v_mul_f32_e32 v125, 0xbf4178ce, v125
	v_add_f32_e32 v128, v131, v128
	v_fma_f32 v131, v26, s13, -v125
	v_fmac_f32_e32 v125, 0xbf27a4f4, v26
	v_add_f32_e32 v10, v125, v10
	v_sub_f32_e32 v125, v50, v55
	v_add_f32_e32 v130, v131, v130
	v_add_f32_e32 v26, v48, v52
	v_mul_f32_e32 v131, 0xbf4178ce, v125
	v_add_f32_e32 v129, v132, v129
	;; [unrolled: 27-line block ×3, first 2 shown]
	v_fma_f32 v132, v26, s14, -v131
	v_fmac_f32_e32 v131, 0xbf75a155, v26
	v_add_f32_e32 v27, v131, v27
	v_mul_f32_e32 v131, 0x3f0a6770, v125
	v_add_f32_e32 v28, v132, v28
	v_fma_f32 v132, v26, s12, -v131
	v_fmac_f32_e32 v131, 0x3f575c64, v26
	v_add_f32_e32 v29, v131, v29
	v_mul_f32_e32 v131, 0xbf4178ce, v125
	v_add_f32_e32 v116, v132, v116
	;; [unrolled: 5-line block ×3, first 2 shown]
	v_fma_f32 v132, v26, s10, -v131
	v_fmac_f32_e32 v131, 0x3ed4b147, v26
	v_mul_f32_e32 v125, 0xbf7d64f0, v125
	v_add_f32_e32 v128, v131, v128
	v_fma_f32 v131, v26, s11, -v125
	v_fmac_f32_e32 v125, 0xbe11bafb, v26
	v_add_f32_e32 v26, v125, v10
	v_add_f32_e32 v10, v124, v98
	;; [unrolled: 1-line block ×11, first 2 shown]
	v_sub_f32_e32 v131, v100, v99
	v_add_f32_e32 v129, v132, v129
	v_add_f32_e32 v125, v10, v35
	;; [unrolled: 1-line block ×3, first 2 shown]
	v_mul_f32_e32 v132, 0xbf0a6770, v131
	v_mul_f32_e32 v134, 0xbf68dda4, v131
	;; [unrolled: 1-line block ×5, first 2 shown]
	v_fma_f32 v140, v10, s14, -v131
	v_fmac_f32_e32 v131, 0xbf75a155, v10
	v_fma_f32 v133, v10, s12, -v132
	v_fmac_f32_e32 v132, 0x3f575c64, v10
	v_fma_f32 v135, v10, s10, -v134
	v_fmac_f32_e32 v134, 0x3ed4b147, v10
	v_fma_f32 v137, v10, s11, -v136
	v_fmac_f32_e32 v136, 0xbe11bafb, v10
	v_fma_f32 v139, v10, s13, -v138
	v_fmac_f32_e32 v138, 0xbf27a4f4, v10
	v_add_f32_e32 v10, v124, v131
	v_sub_f32_e32 v131, v83, v91
	v_add_f32_e32 v133, v124, v133
	v_add_f32_e32 v132, v124, v132
	;; [unrolled: 1-line block ×10, first 2 shown]
	v_mul_f32_e32 v141, 0xbf68dda4, v131
	v_fma_f32 v142, v124, s10, -v141
	v_fmac_f32_e32 v141, 0x3ed4b147, v124
	v_add_f32_e32 v132, v141, v132
	v_mul_f32_e32 v141, 0xbf4178ce, v131
	v_add_f32_e32 v133, v142, v133
	v_fma_f32 v142, v124, s13, -v141
	v_fmac_f32_e32 v141, 0xbf27a4f4, v124
	v_add_f32_e32 v134, v141, v134
	v_mul_f32_e32 v141, 0x3e903f40, v131
	v_add_f32_e32 v135, v142, v135
	v_fma_f32 v142, v124, s14, -v141
	v_fmac_f32_e32 v141, 0xbf75a155, v124
	v_add_f32_e32 v136, v141, v136
	v_mul_f32_e32 v141, 0x3f7d64f0, v131
	v_add_f32_e32 v137, v142, v137
	v_fma_f32 v142, v124, s11, -v141
	v_fmac_f32_e32 v141, 0xbe11bafb, v124
	v_mul_f32_e32 v131, 0x3f0a6770, v131
	v_add_f32_e32 v138, v141, v138
	v_fma_f32 v141, v124, s12, -v131
	v_fmac_f32_e32 v131, 0x3f575c64, v124
	v_add_f32_e32 v10, v131, v10
	v_sub_f32_e32 v131, v70, v81
	v_add_f32_e32 v140, v141, v140
	v_add_f32_e32 v124, v53, v39
	v_mul_f32_e32 v141, 0xbf7d64f0, v131
	v_add_f32_e32 v139, v142, v139
	v_fma_f32 v142, v124, s11, -v141
	v_fmac_f32_e32 v141, 0xbe11bafb, v124
	v_add_f32_e32 v132, v141, v132
	v_mul_f32_e32 v141, 0x3e903f40, v131
	v_add_f32_e32 v133, v142, v133
	v_fma_f32 v142, v124, s14, -v141
	v_fmac_f32_e32 v141, 0xbf75a155, v124
	v_add_f32_e32 v134, v141, v134
	v_mul_f32_e32 v141, 0x3f68dda4, v131
	v_add_f32_e32 v135, v142, v135
	v_fma_f32 v142, v124, s10, -v141
	v_fmac_f32_e32 v141, 0x3ed4b147, v124
	v_add_f32_e32 v136, v141, v136
	v_mul_f32_e32 v141, 0xbf0a6770, v131
	v_add_f32_e32 v137, v142, v137
	v_fma_f32 v142, v124, s12, -v141
	v_fmac_f32_e32 v141, 0x3f575c64, v124
	v_mul_f32_e32 v131, 0xbf4178ce, v131
	v_add_f32_e32 v138, v141, v138
	v_fma_f32 v141, v124, s13, -v131
	v_fmac_f32_e32 v131, 0xbf27a4f4, v124
	v_add_f32_e32 v10, v131, v10
	v_sub_f32_e32 v131, v49, v45
	v_add_f32_e32 v140, v141, v140
	v_add_f32_e32 v124, v47, v36
	v_mul_f32_e32 v141, 0xbf4178ce, v131
	v_add_f32_e32 v139, v142, v139
	;; [unrolled: 27-line block ×3, first 2 shown]
	v_fma_f32 v142, v124, s14, -v141
	v_fmac_f32_e32 v141, 0xbf75a155, v124
	v_add_f32_e32 v132, v141, v132
	v_mul_f32_e32 v141, 0x3f0a6770, v131
	v_add_f32_e32 v6, v6, v68
	v_add_f32_e32 v133, v142, v133
	v_fma_f32 v142, v124, s12, -v141
	v_fmac_f32_e32 v141, 0x3f575c64, v124
	v_add_f32_e32 v6, v6, v62
	v_add_f32_e32 v134, v141, v134
	v_mul_f32_e32 v141, 0xbf4178ce, v131
	v_add_f32_e32 v6, v6, v58
	v_add_f32_e32 v135, v142, v135
	v_fma_f32 v142, v124, s13, -v141
	v_fmac_f32_e32 v141, 0xbf27a4f4, v124
	v_add_f32_e32 v6, v6, v9
	v_add_f32_e32 v136, v141, v136
	v_mul_f32_e32 v141, 0x3f68dda4, v131
	v_add_f32_e32 v6, v6, v30
	v_add_f32_e32 v137, v142, v137
	v_fma_f32 v142, v124, s10, -v141
	v_fmac_f32_e32 v141, 0x3ed4b147, v124
	v_mul_f32_e32 v131, 0xbf7d64f0, v131
	v_add_f32_e32 v6, v6, v54
	v_add_f32_e32 v138, v141, v138
	v_fma_f32 v141, v124, s11, -v131
	v_fmac_f32_e32 v131, 0xbe11bafb, v124
	v_add_f32_e32 v6, v6, v66
	v_add_f32_e32 v124, v131, v10
	v_mov_b32_e32 v10, 2
	v_add_f32_e32 v6, v6, v89
	v_lshlrev_b32_sdwa v126, v10, v126 dst_sel:DWORD dst_unused:UNUSED_PAD src0_sel:DWORD src1_sel:BYTE_0
	v_add_f32_e32 v6, v6, v101
	v_add3_u32 v107, 0, v107, v126
	ds_write2_b32 v107, v6, v17 offset1:7
	ds_write2_b32 v107, v19, v22 offset0:14 offset1:21
	ds_write2_b32 v107, v24, v25 offset0:28 offset1:35
	;; [unrolled: 1-line block ×4, first 2 shown]
	ds_write_b32 v107, v16 offset:280
	v_mul_u32_u24_e32 v6, 0x134, v108
	v_lshlrev_b32_sdwa v12, v10, v110 dst_sel:DWORD dst_unused:UNUSED_PAD src0_sel:DWORD src1_sel:BYTE_0
	v_add3_u32 v108, 0, v6, v12
	v_mul_u32_u24_e32 v6, 0x134, v114
	v_lshlrev_b32_sdwa v12, v10, v115 dst_sel:DWORD dst_unused:UNUSED_PAD src0_sel:DWORD src1_sel:BYTE_0
	v_add3_u32 v110, 0, v6, v12
	v_add_f32_e32 v139, v142, v139
	v_add_f32_e32 v140, v141, v140
	ds_write2_b32 v108, v13, v28 offset1:7
	ds_write2_b32 v108, v116, v127 offset0:14 offset1:21
	ds_write2_b32 v108, v129, v130 offset0:28 offset1:35
	;; [unrolled: 1-line block ×4, first 2 shown]
	ds_write_b32 v108, v27 offset:280
	ds_write2_b32 v110, v125, v133 offset1:7
	ds_write2_b32 v110, v135, v137 offset0:14 offset1:21
	ds_write2_b32 v110, v139, v140 offset0:28 offset1:35
	;; [unrolled: 1-line block ×4, first 2 shown]
	ds_write_b32 v110, v132 offset:280
	s_and_saveexec_b64 s[4:5], s[0:1]
	s_cbranch_execz .LBB0_19
; %bb.18:
	v_sub_f32_e32 v12, v106, v113
	v_add_f32_e32 v6, v103, v112
	v_mul_f32_e32 v13, 0xbe903f40, v12
	v_sub_f32_e32 v18, v96, v111
	v_fmamk_f32 v16, v6, 0xbf75a155, v13
	v_add_f32_e32 v17, v95, v109
	v_mul_f32_e32 v19, 0x3f0a6770, v18
	v_add_f32_e32 v16, v7, v16
	v_fmamk_f32 v21, v17, 0x3f575c64, v19
	v_sub_f32_e32 v22, v87, v15
	v_add_f32_e32 v16, v21, v16
	v_add_f32_e32 v21, v86, v92
	v_mul_f32_e32 v23, 0xbf4178ce, v22
	v_fmamk_f32 v24, v21, 0xbf27a4f4, v23
	v_sub_f32_e32 v25, v79, v14
	v_fma_f32 v13, v6, s14, -v13
	v_add_f32_e32 v16, v24, v16
	v_add_f32_e32 v24, v76, v84
	v_mul_f32_e32 v26, 0x3f68dda4, v25
	v_add_f32_e32 v13, v7, v13
	v_fma_f32 v19, v17, s12, -v19
	v_fmamk_f32 v27, v24, 0x3ed4b147, v26
	v_sub_f32_e32 v28, v31, v57
	v_add_f32_e32 v13, v19, v13
	v_fma_f32 v19, v21, s13, -v23
	v_add_f32_e32 v16, v27, v16
	v_add_f32_e32 v27, v0, v51
	v_mul_f32_e32 v29, 0xbf7d64f0, v28
	v_add_f32_e32 v13, v19, v13
	v_fma_f32 v19, v24, s10, -v26
	v_add_f32_e32 v13, v19, v13
	v_fma_f32 v19, v27, s11, -v29
	v_add_f32_e32 v13, v19, v13
	v_mul_f32_e32 v19, 0xbf4178ce, v12
	v_fmamk_f32 v23, v6, 0xbf27a4f4, v19
	v_mul_f32_e32 v26, 0x3f7d64f0, v18
	v_fmamk_f32 v114, v27, 0xbe11bafb, v29
	v_add_f32_e32 v23, v7, v23
	v_fmamk_f32 v29, v17, 0xbe11bafb, v26
	v_add_f32_e32 v23, v29, v23
	v_mul_f32_e32 v29, 0xbf0a6770, v22
	v_add_f32_e32 v16, v114, v16
	v_fmamk_f32 v114, v21, 0x3f575c64, v29
	v_fma_f32 v19, v6, s13, -v19
	v_add_f32_e32 v23, v114, v23
	v_mul_f32_e32 v114, 0xbe903f40, v25
	v_add_f32_e32 v19, v7, v19
	v_fma_f32 v26, v17, s11, -v26
	v_fmamk_f32 v115, v24, 0xbf75a155, v114
	v_add_f32_e32 v19, v26, v19
	v_fma_f32 v26, v21, s12, -v29
	v_add_f32_e32 v23, v115, v23
	v_mul_f32_e32 v115, 0x3f68dda4, v28
	v_add_f32_e32 v19, v26, v19
	v_fma_f32 v26, v24, s14, -v114
	v_add_f32_e32 v19, v26, v19
	v_fma_f32 v26, v27, s10, -v115
	v_add_f32_e32 v19, v26, v19
	v_mul_f32_e32 v26, 0xbf7d64f0, v12
	v_fmamk_f32 v29, v6, 0xbe11bafb, v26
	v_mul_f32_e32 v114, 0x3e903f40, v18
	v_fmamk_f32 v116, v27, 0x3ed4b147, v115
	v_add_f32_e32 v29, v7, v29
	v_fmamk_f32 v115, v17, 0xbf75a155, v114
	v_add_f32_e32 v29, v115, v29
	v_mul_f32_e32 v115, 0x3f68dda4, v22
	v_add_f32_e32 v23, v116, v23
	v_fmamk_f32 v116, v21, 0x3ed4b147, v115
	v_fma_f32 v26, v6, s11, -v26
	v_add_f32_e32 v29, v116, v29
	v_mul_f32_e32 v116, 0xbf0a6770, v25
	v_add_f32_e32 v26, v7, v26
	v_fma_f32 v114, v17, s14, -v114
	v_fmamk_f32 v117, v24, 0x3f575c64, v116
	v_add_f32_e32 v26, v114, v26
	v_fma_f32 v114, v21, s10, -v115
	;; [unrolled: 25-line block ×3, first 2 shown]
	v_add_f32_e32 v115, v125, v115
	v_mul_f32_e32 v125, 0x3f0a6770, v28
	v_add_f32_e32 v114, v116, v114
	v_fma_f32 v116, v24, s11, -v124
	v_add_f32_e32 v114, v116, v114
	v_fma_f32 v116, v27, s12, -v125
	v_mul_f32_e32 v12, 0xbf0a6770, v12
	v_add_f32_e32 v114, v116, v114
	v_fmamk_f32 v116, v6, 0x3f575c64, v12
	v_fma_f32 v6, v6, s12, -v12
	v_add_f32_e32 v116, v7, v116
	v_add_f32_e32 v6, v7, v6
	;; [unrolled: 1-line block ×5, first 2 shown]
	v_mul_f32_e32 v18, 0xbf68dda4, v18
	v_add_f32_e32 v7, v7, v76
	v_mul_f32_e32 v22, 0xbf7d64f0, v22
	v_fma_f32 v12, v17, s10, -v18
	v_add_f32_e32 v7, v7, v0
	v_mul_f32_e32 v25, 0xbf4178ce, v25
	v_add_f32_e32 v6, v12, v6
	v_fma_f32 v12, v21, s11, -v22
	v_add_f32_e32 v7, v7, v51
	v_fmamk_f32 v117, v17, 0x3ed4b147, v18
	v_mul_f32_e32 v28, 0xbe903f40, v28
	v_add_f32_e32 v6, v12, v6
	v_fma_f32 v12, v24, s13, -v25
	v_add_f32_e32 v7, v7, v84
	v_add_f32_e32 v116, v117, v116
	v_fmamk_f32 v117, v21, 0xbe11bafb, v22
	v_add_f32_e32 v6, v12, v6
	v_fma_f32 v12, v27, s14, -v28
	v_add_f32_e32 v7, v7, v92
	v_add_f32_e32 v116, v117, v116
	v_fmamk_f32 v117, v24, 0xbf27a4f4, v25
	v_add_f32_e32 v6, v12, v6
	v_add_f32_e32 v7, v7, v109
	v_mul_u32_u24_e32 v12, 0x134, v32
	v_lshlrev_b32_sdwa v10, v10, v33 dst_sel:DWORD dst_unused:UNUSED_PAD src0_sel:DWORD src1_sel:BYTE_0
	v_fmamk_f32 v126, v27, 0x3f575c64, v125
	v_add_f32_e32 v116, v117, v116
	v_fmamk_f32 v117, v27, 0xbf75a155, v28
	v_add_f32_e32 v7, v7, v112
	v_add3_u32 v10, 0, v12, v10
	v_add_f32_e32 v115, v126, v115
	v_add_f32_e32 v116, v117, v116
	ds_write2_b32 v10, v7, v6 offset1:7
	ds_write2_b32 v10, v114, v26 offset0:14 offset1:21
	ds_write2_b32 v10, v19, v13 offset0:28 offset1:35
	;; [unrolled: 1-line block ×4, first 2 shown]
	ds_write_b32 v10, v116 offset:280
.LBB0_19:
	s_or_b64 exec, exec, s[4:5]
	v_add_f32_e32 v6, v8, v80
	v_add_f32_e32 v6, v6, v69
	;; [unrolled: 1-line block ×9, first 2 shown]
	v_sub_f32_e32 v7, v78, v101
	v_add_f32_e32 v114, v6, v104
	v_add_f32_e32 v6, v80, v104
	v_mul_f32_e32 v10, 0xbf0a6770, v7
	v_mul_f32_e32 v13, 0xbf68dda4, v7
	;; [unrolled: 1-line block ×5, first 2 shown]
	v_fmamk_f32 v12, v6, 0x3f575c64, v10
	v_fma_f32 v10, v6, s12, -v10
	v_fmamk_f32 v16, v6, 0x3ed4b147, v13
	v_fma_f32 v13, v6, s10, -v13
	;; [unrolled: 2-line block ×5, first 2 shown]
	v_add_f32_e32 v12, v8, v12
	v_add_f32_e32 v10, v8, v10
	;; [unrolled: 1-line block ×10, first 2 shown]
	v_sub_f32_e32 v8, v68, v89
	v_add_f32_e32 v7, v69, v85
	v_mul_f32_e32 v23, 0xbf68dda4, v8
	v_fmamk_f32 v24, v7, 0x3ed4b147, v23
	v_fma_f32 v23, v7, s10, -v23
	v_add_f32_e32 v10, v23, v10
	v_mul_f32_e32 v23, 0xbf4178ce, v8
	v_add_f32_e32 v12, v24, v12
	v_fmamk_f32 v24, v7, 0xbf27a4f4, v23
	v_fma_f32 v23, v7, s13, -v23
	v_add_f32_e32 v13, v23, v13
	v_mul_f32_e32 v23, 0x3e903f40, v8
	v_add_f32_e32 v16, v24, v16
	;; [unrolled: 5-line block ×3, first 2 shown]
	v_fmamk_f32 v24, v7, 0xbe11bafb, v23
	v_fma_f32 v23, v7, s11, -v23
	v_mul_f32_e32 v8, 0x3f0a6770, v8
	v_add_f32_e32 v19, v23, v19
	v_fmamk_f32 v23, v7, 0x3f575c64, v8
	v_fma_f32 v7, v7, s12, -v8
	v_sub_f32_e32 v8, v62, v66
	v_add_f32_e32 v22, v23, v22
	v_add_f32_e32 v6, v7, v6
	;; [unrolled: 1-line block ×3, first 2 shown]
	v_mul_f32_e32 v23, 0xbf7d64f0, v8
	v_add_f32_e32 v21, v24, v21
	v_fmamk_f32 v24, v7, 0xbe11bafb, v23
	v_fma_f32 v23, v7, s11, -v23
	v_add_f32_e32 v10, v23, v10
	v_mul_f32_e32 v23, 0x3e903f40, v8
	v_add_f32_e32 v12, v24, v12
	v_fmamk_f32 v24, v7, 0xbf75a155, v23
	v_fma_f32 v23, v7, s14, -v23
	v_add_f32_e32 v13, v23, v13
	;; [unrolled: 5-line block ×3, first 2 shown]
	v_mul_f32_e32 v23, 0xbf0a6770, v8
	v_add_f32_e32 v18, v24, v18
	v_fmamk_f32 v24, v7, 0x3f575c64, v23
	v_fma_f32 v23, v7, s12, -v23
	v_mul_f32_e32 v8, 0xbf4178ce, v8
	v_add_f32_e32 v19, v23, v19
	v_fmamk_f32 v23, v7, 0xbf27a4f4, v8
	v_fma_f32 v7, v7, s13, -v8
	v_sub_f32_e32 v8, v58, v54
	v_add_f32_e32 v22, v23, v22
	v_add_f32_e32 v6, v7, v6
	;; [unrolled: 1-line block ×3, first 2 shown]
	v_mul_f32_e32 v23, 0xbf4178ce, v8
	v_add_f32_e32 v21, v24, v21
	v_fmamk_f32 v24, v7, 0xbf27a4f4, v23
	v_fma_f32 v23, v7, s13, -v23
	v_add_f32_e32 v10, v23, v10
	v_mul_f32_e32 v23, 0x3f7d64f0, v8
	v_add_f32_e32 v12, v24, v12
	v_fmamk_f32 v24, v7, 0xbe11bafb, v23
	v_fma_f32 v23, v7, s11, -v23
	v_add_f32_e32 v13, v23, v13
	;; [unrolled: 5-line block ×3, first 2 shown]
	v_mul_f32_e32 v23, 0xbe903f40, v8
	v_add_f32_e32 v18, v24, v18
	v_fmamk_f32 v24, v7, 0xbf75a155, v23
	v_fma_f32 v23, v7, s14, -v23
	v_mul_f32_e32 v8, 0x3f68dda4, v8
	v_add_f32_e32 v19, v23, v19
	v_fmamk_f32 v23, v7, 0x3ed4b147, v8
	v_fma_f32 v7, v7, s10, -v8
	v_sub_f32_e32 v8, v9, v30
	v_add_f32_e32 v6, v7, v6
	v_add_f32_e32 v7, v11, v41
	v_mul_f32_e32 v9, 0xbe903f40, v8
	v_fmamk_f32 v11, v7, 0xbf75a155, v9
	v_fma_f32 v9, v7, s14, -v9
	v_add_f32_e32 v66, v9, v10
	v_mul_f32_e32 v9, 0x3f0a6770, v8
	v_fmamk_f32 v10, v7, 0x3f575c64, v9
	v_fma_f32 v9, v7, s12, -v9
	v_add_f32_e32 v68, v9, v13
	v_mul_f32_e32 v9, 0xbf4178ce, v8
	v_add_f32_e32 v67, v10, v16
	v_fmamk_f32 v10, v7, 0xbf27a4f4, v9
	v_fma_f32 v9, v7, s13, -v9
	v_add_f32_e32 v78, v9, v17
	v_mul_f32_e32 v9, 0x3f68dda4, v8
	v_add_f32_e32 v69, v10, v18
	v_fmamk_f32 v10, v7, 0x3ed4b147, v9
	v_fma_f32 v9, v7, s10, -v9
	v_mul_f32_e32 v8, 0xbf7d64f0, v8
	v_add_f32_e32 v89, v9, v19
	v_fmamk_f32 v9, v7, 0xbe11bafb, v8
	v_fma_f32 v7, v7, s11, -v8
	v_add_f32_e32 v104, v7, v6
	v_add_f32_e32 v6, v60, v97
	;; [unrolled: 1-line block ×11, first 2 shown]
	v_sub_f32_e32 v7, v93, v102
	v_add_f32_e32 v22, v23, v22
	v_add_f32_e32 v30, v11, v12
	;; [unrolled: 1-line block ×5, first 2 shown]
	v_mul_f32_e32 v8, 0xbf0a6770, v7
	v_mul_f32_e32 v10, 0xbf68dda4, v7
	;; [unrolled: 1-line block ×5, first 2 shown]
	v_sub_f32_e32 v19, v74, v90
	v_add_f32_e32 v101, v9, v22
	v_fmamk_f32 v9, v6, 0x3f575c64, v8
	v_fma_f32 v8, v6, s12, -v8
	v_fmamk_f32 v11, v6, 0x3ed4b147, v10
	v_fma_f32 v10, v6, s10, -v10
	;; [unrolled: 2-line block ×5, first 2 shown]
	v_add_f32_e32 v7, v75, v94
	v_mul_f32_e32 v21, 0xbf68dda4, v19
	v_add_f32_e32 v8, v60, v8
	v_fmamk_f32 v22, v7, 0x3ed4b147, v21
	v_fma_f32 v21, v7, s10, -v21
	v_add_f32_e32 v9, v60, v9
	v_add_f32_e32 v8, v21, v8
	v_mul_f32_e32 v21, 0xbf4178ce, v19
	v_add_f32_e32 v10, v60, v10
	v_add_f32_e32 v9, v22, v9
	v_fmamk_f32 v22, v7, 0xbf27a4f4, v21
	v_fma_f32 v21, v7, s13, -v21
	v_add_f32_e32 v11, v60, v11
	v_add_f32_e32 v10, v21, v10
	v_mul_f32_e32 v21, 0x3e903f40, v19
	v_add_f32_e32 v12, v60, v12
	;; [unrolled: 7-line block ×3, first 2 shown]
	v_add_f32_e32 v13, v22, v13
	v_fmamk_f32 v22, v7, 0xbe11bafb, v21
	v_fma_f32 v21, v7, s11, -v21
	v_mul_f32_e32 v19, 0x3f0a6770, v19
	v_add_f32_e32 v18, v60, v18
	v_add_f32_e32 v6, v60, v6
	;; [unrolled: 1-line block ×3, first 2 shown]
	v_fmamk_f32 v21, v7, 0x3f575c64, v19
	v_fma_f32 v7, v7, s12, -v19
	v_sub_f32_e32 v19, v59, v71
	v_add_f32_e32 v17, v60, v17
	v_add_f32_e32 v18, v21, v18
	;; [unrolled: 1-line block ×4, first 2 shown]
	v_mul_f32_e32 v21, 0xbf7d64f0, v19
	v_add_f32_e32 v17, v22, v17
	v_fmamk_f32 v22, v7, 0xbe11bafb, v21
	v_fma_f32 v21, v7, s11, -v21
	v_add_f32_e32 v8, v21, v8
	v_mul_f32_e32 v21, 0x3e903f40, v19
	v_add_f32_e32 v9, v22, v9
	v_fmamk_f32 v22, v7, 0xbf75a155, v21
	v_fma_f32 v21, v7, s14, -v21
	v_add_f32_e32 v10, v21, v10
	;; [unrolled: 5-line block ×3, first 2 shown]
	v_mul_f32_e32 v21, 0xbf0a6770, v19
	v_add_f32_e32 v13, v22, v13
	v_fmamk_f32 v22, v7, 0x3f575c64, v21
	v_fma_f32 v21, v7, s12, -v21
	v_mul_f32_e32 v19, 0xbf4178ce, v19
	v_add_f32_e32 v16, v21, v16
	v_fmamk_f32 v21, v7, 0xbf27a4f4, v19
	v_fma_f32 v7, v7, s13, -v19
	v_sub_f32_e32 v19, v48, v52
	v_add_f32_e32 v18, v21, v18
	v_add_f32_e32 v6, v7, v6
	;; [unrolled: 1-line block ×3, first 2 shown]
	v_mul_f32_e32 v21, 0xbf4178ce, v19
	v_add_f32_e32 v17, v22, v17
	v_fmamk_f32 v22, v7, 0xbf27a4f4, v21
	v_fma_f32 v21, v7, s13, -v21
	v_add_f32_e32 v8, v21, v8
	v_mul_f32_e32 v21, 0x3f7d64f0, v19
	v_add_f32_e32 v9, v22, v9
	v_fmamk_f32 v22, v7, 0xbe11bafb, v21
	v_fma_f32 v21, v7, s11, -v21
	v_add_f32_e32 v10, v21, v10
	;; [unrolled: 5-line block ×3, first 2 shown]
	v_mul_f32_e32 v21, 0xbe903f40, v19
	v_add_f32_e32 v13, v22, v13
	v_fmamk_f32 v22, v7, 0xbf75a155, v21
	v_fma_f32 v21, v7, s14, -v21
	v_mul_f32_e32 v19, 0x3f68dda4, v19
	v_add_f32_e32 v16, v21, v16
	v_fmamk_f32 v21, v7, 0x3ed4b147, v19
	v_fma_f32 v7, v7, s10, -v19
	v_sub_f32_e32 v19, v37, v44
	v_add_f32_e32 v18, v21, v18
	v_add_f32_e32 v6, v7, v6
	;; [unrolled: 1-line block ×3, first 2 shown]
	v_mul_f32_e32 v21, 0xbe903f40, v19
	v_add_f32_e32 v17, v22, v17
	v_fmamk_f32 v22, v7, 0xbf75a155, v21
	v_add_f32_e32 v43, v22, v9
	v_fma_f32 v9, v7, s14, -v21
	v_add_f32_e32 v64, v9, v8
	v_mul_f32_e32 v8, 0x3f0a6770, v19
	v_fmamk_f32 v9, v7, 0x3f575c64, v8
	v_fma_f32 v8, v7, s12, -v8
	v_add_f32_e32 v73, v8, v10
	v_mul_f32_e32 v8, 0xbf4178ce, v19
	v_add_f32_e32 v71, v9, v11
	v_fmamk_f32 v9, v7, 0xbf27a4f4, v8
	v_fma_f32 v8, v7, s13, -v8
	v_add_f32_e32 v75, v8, v12
	v_mul_f32_e32 v8, 0x3f68dda4, v19
	v_add_f32_e32 v74, v9, v13
	;; [unrolled: 5-line block ×3, first 2 shown]
	v_fmamk_f32 v9, v7, 0xbe11bafb, v8
	v_fma_f32 v7, v7, s11, -v8
	v_add_f32_e32 v97, v7, v6
	v_add_f32_e32 v6, v20, v100
	;; [unrolled: 1-line block ×10, first 2 shown]
	v_sub_f32_e32 v7, v98, v35
	v_add_f32_e32 v102, v6, v99
	v_add_f32_e32 v6, v100, v99
	v_mul_f32_e32 v8, 0xbf0a6770, v7
	v_mul_f32_e32 v10, 0xbf68dda4, v7
	;; [unrolled: 1-line block ×5, first 2 shown]
	v_add_f32_e32 v94, v9, v18
	v_fmamk_f32 v9, v6, 0x3f575c64, v8
	v_fma_f32 v8, v6, s12, -v8
	v_fmamk_f32 v11, v6, 0x3ed4b147, v10
	v_fma_f32 v10, v6, s10, -v10
	;; [unrolled: 2-line block ×5, first 2 shown]
	v_sub_f32_e32 v19, v82, v88
	v_add_f32_e32 v9, v20, v9
	v_add_f32_e32 v8, v20, v8
	;; [unrolled: 1-line block ×11, first 2 shown]
	v_mul_f32_e32 v20, 0xbf68dda4, v19
	v_fmamk_f32 v21, v7, 0x3ed4b147, v20
	v_fma_f32 v20, v7, s10, -v20
	v_add_f32_e32 v8, v20, v8
	v_mul_f32_e32 v20, 0xbf4178ce, v19
	v_add_f32_e32 v9, v21, v9
	v_fmamk_f32 v21, v7, 0xbf27a4f4, v20
	v_fma_f32 v20, v7, s13, -v20
	v_add_f32_e32 v10, v20, v10
	v_mul_f32_e32 v20, 0x3e903f40, v19
	v_add_f32_e32 v11, v21, v11
	v_fmamk_f32 v21, v7, 0xbf75a155, v20
	v_fma_f32 v20, v7, s14, -v20
	v_add_f32_e32 v12, v20, v12
	v_mul_f32_e32 v20, 0x3f7d64f0, v19
	v_add_f32_e32 v13, v21, v13
	v_fmamk_f32 v21, v7, 0xbe11bafb, v20
	v_fma_f32 v20, v7, s11, -v20
	v_mul_f32_e32 v19, 0x3f0a6770, v19
	v_add_f32_e32 v16, v20, v16
	v_fmamk_f32 v20, v7, 0x3f575c64, v19
	v_fma_f32 v7, v7, s12, -v19
	v_sub_f32_e32 v19, v53, v39
	v_add_f32_e32 v18, v20, v18
	v_add_f32_e32 v6, v7, v6
	v_add_f32_e32 v7, v70, v81
	v_mul_f32_e32 v20, 0xbf7d64f0, v19
	v_add_f32_e32 v17, v21, v17
	v_fmamk_f32 v21, v7, 0xbe11bafb, v20
	v_fma_f32 v20, v7, s11, -v20
	v_add_f32_e32 v8, v20, v8
	v_mul_f32_e32 v20, 0x3e903f40, v19
	v_add_f32_e32 v9, v21, v9
	v_fmamk_f32 v21, v7, 0xbf75a155, v20
	v_fma_f32 v20, v7, s14, -v20
	v_add_f32_e32 v10, v20, v10
	v_mul_f32_e32 v20, 0x3f68dda4, v19
	v_add_f32_e32 v11, v21, v11
	v_fmamk_f32 v21, v7, 0x3ed4b147, v20
	v_fma_f32 v20, v7, s10, -v20
	v_add_f32_e32 v12, v20, v12
	v_mul_f32_e32 v20, 0xbf0a6770, v19
	v_add_f32_e32 v13, v21, v13
	v_fmamk_f32 v21, v7, 0x3f575c64, v20
	v_fma_f32 v20, v7, s12, -v20
	v_mul_f32_e32 v19, 0xbf4178ce, v19
	v_add_f32_e32 v16, v20, v16
	v_fmamk_f32 v20, v7, 0xbf27a4f4, v19
	v_fma_f32 v7, v7, s13, -v19
	v_sub_f32_e32 v19, v47, v36
	v_add_f32_e32 v18, v20, v18
	v_add_f32_e32 v6, v7, v6
	v_add_f32_e32 v7, v49, v45
	v_mul_f32_e32 v20, 0xbf4178ce, v19
	v_add_f32_e32 v17, v21, v17
	;; [unrolled: 27-line block ×3, first 2 shown]
	v_fmamk_f32 v21, v7, 0xbf75a155, v20
	v_add_f32_e32 v42, v21, v9
	v_fma_f32 v9, v7, s14, -v20
	v_add_f32_e32 v70, v9, v8
	v_mul_f32_e32 v8, 0x3f0a6770, v19
	v_fmamk_f32 v9, v7, 0x3f575c64, v8
	v_fma_f32 v8, v7, s12, -v8
	v_add_f32_e32 v82, v8, v10
	v_mul_f32_e32 v8, 0xbf4178ce, v19
	v_add_f32_e32 v81, v9, v11
	v_fmamk_f32 v9, v7, 0xbf27a4f4, v8
	v_fma_f32 v8, v7, s13, -v8
	v_add_f32_e32 v88, v8, v12
	v_mul_f32_e32 v8, 0x3f68dda4, v19
	v_add_f32_e32 v83, v9, v13
	;; [unrolled: 5-line block ×3, first 2 shown]
	v_fmamk_f32 v9, v7, 0xbe11bafb, v8
	v_add_u32_e32 v56, 0x400, v123
	v_add_u32_e32 v49, 0xa00, v123
	;; [unrolled: 1-line block ×8, first 2 shown]
	v_add_f32_e32 v99, v9, v18
	v_fma_f32 v7, v7, s11, -v8
	s_waitcnt lgkmcnt(0)
	; wave barrier
	s_waitcnt lgkmcnt(0)
	ds_read_b32 v58, v123
	ds_read2_b32 v[40:41], v56 offset0:129 offset1:184
	ds_read2_b32 v[10:11], v49 offset0:75 offset1:130
	;; [unrolled: 1-line block ×8, first 2 shown]
	ds_read_b32 v62, v77
	ds_read_b32 v59, v72
	ds_read2_b32 v[24:25], v52 offset0:167 offset1:222
	ds_read2_b32 v[22:23], v50 offset0:169 offset1:224
	v_lshl_add_u32 v46, v118, 2, 0
	v_add_u32_e32 v60, 0x800, v123
	v_add_u32_e32 v54, 0x1400, v123
	;; [unrolled: 1-line block ×4, first 2 shown]
	v_add_f32_e32 v100, v7, v6
	v_lshl_add_u32 v80, v122, 2, 0
	ds_read_b32 v63, v65
	ds_read_b32 v61, v80
	ds_read2_b32 v[20:21], v60 offset0:93 offset1:148
	ds_read2_b32 v[18:19], v54 offset0:95 offset1:150
	;; [unrolled: 1-line block ×5, first 2 shown]
	s_waitcnt lgkmcnt(0)
	; wave barrier
	s_waitcnt lgkmcnt(0)
	ds_write2_b32 v107, v114, v30 offset1:7
	ds_write2_b32 v107, v67, v69 offset0:14 offset1:21
	ds_write2_b32 v107, v85, v101 offset0:28 offset1:35
	ds_write2_b32 v107, v104, v89 offset0:42 offset1:49
	ds_write2_b32 v107, v78, v68 offset0:56 offset1:63
	ds_write_b32 v107, v66 offset:280
	ds_write2_b32 v108, v115, v43 offset1:7
	ds_write2_b32 v108, v71, v74 offset0:14 offset1:21
	ds_write2_b32 v108, v90, v94 offset0:28 offset1:35
	ds_write2_b32 v108, v97, v93 offset0:42 offset1:49
	ds_write2_b32 v108, v75, v73 offset0:56 offset1:63
	ds_write_b32 v108, v64 offset:280
	;; [unrolled: 6-line block ×3, first 2 shown]
	s_and_saveexec_b64 s[4:5], s[0:1]
	s_cbranch_execz .LBB0_21
; %bb.20:
	v_sub_f32_e32 v43, v103, v112
	v_add_f32_e32 v42, v106, v113
	v_mul_f32_e32 v64, 0xbf0a6770, v43
	s_mov_b32 s0, 0x3f575c64
	v_mul_f32_e32 v67, 0xbf68dda4, v43
	s_mov_b32 s1, 0x3ed4b147
	;; [unrolled: 2-line block ×5, first 2 shown]
	v_fmamk_f32 v66, v42, 0x3f575c64, v64
	v_fma_f32 v64, v42, s0, -v64
	v_fmamk_f32 v68, v42, 0x3ed4b147, v67
	v_fma_f32 v67, v42, s1, -v67
	;; [unrolled: 2-line block ×5, first 2 shown]
	v_sub_f32_e32 v43, v95, v109
	v_add_f32_e32 v30, v1, v106
	v_add_f32_e32 v66, v1, v66
	;; [unrolled: 1-line block ×12, first 2 shown]
	v_mul_f32_e32 v75, 0xbf68dda4, v43
	v_fmamk_f32 v78, v42, 0x3ed4b147, v75
	v_fma_f32 v75, v42, s1, -v75
	v_add_f32_e32 v64, v75, v64
	v_mul_f32_e32 v75, 0xbf4178ce, v43
	v_add_f32_e32 v66, v78, v66
	v_fmamk_f32 v78, v42, 0xbf27a4f4, v75
	v_fma_f32 v75, v42, s11, -v75
	v_add_f32_e32 v30, v30, v96
	v_add_f32_e32 v67, v75, v67
	v_mul_f32_e32 v75, 0x3e903f40, v43
	v_add_f32_e32 v30, v30, v87
	v_add_f32_e32 v68, v78, v68
	v_fmamk_f32 v78, v42, 0xbf75a155, v75
	v_fma_f32 v75, v42, s12, -v75
	v_add_f32_e32 v30, v30, v79
	v_add_f32_e32 v69, v75, v69
	v_mul_f32_e32 v75, 0x3f7d64f0, v43
	v_add_f32_e32 v30, v30, v31
	v_add_f32_e32 v70, v78, v70
	v_fmamk_f32 v78, v42, 0xbe11bafb, v75
	v_fma_f32 v75, v42, s10, -v75
	v_mul_f32_e32 v43, 0x3f0a6770, v43
	v_add_f32_e32 v30, v30, v57
	v_add_f32_e32 v71, v75, v71
	v_fmamk_f32 v75, v42, 0x3f575c64, v43
	v_fma_f32 v42, v42, s0, -v43
	v_add_f32_e32 v30, v30, v14
	v_add_f32_e32 v1, v42, v1
	v_sub_f32_e32 v42, v86, v92
	v_add_f32_e32 v30, v30, v15
	v_add_f32_e32 v15, v87, v15
	v_mul_f32_e32 v43, 0xbf7d64f0, v42
	v_add_f32_e32 v74, v75, v74
	v_fmamk_f32 v75, v15, 0xbe11bafb, v43
	v_fma_f32 v43, v15, s10, -v43
	v_add_f32_e32 v43, v43, v64
	v_mul_f32_e32 v64, 0x3e903f40, v42
	v_add_f32_e32 v66, v75, v66
	v_fmamk_f32 v75, v15, 0xbf75a155, v64
	v_fma_f32 v64, v15, s12, -v64
	;; [unrolled: 5-line block ×4, first 2 shown]
	v_mul_f32_e32 v42, 0xbf4178ce, v42
	v_add_f32_e32 v69, v69, v71
	v_fmamk_f32 v71, v15, 0xbf27a4f4, v42
	v_fma_f32 v15, v15, s11, -v42
	v_add_f32_e32 v1, v15, v1
	v_sub_f32_e32 v15, v76, v84
	v_add_f32_e32 v14, v79, v14
	v_mul_f32_e32 v42, 0xbf4178ce, v15
	v_add_f32_e32 v71, v71, v74
	v_fmamk_f32 v74, v14, 0xbf27a4f4, v42
	v_fma_f32 v42, v14, s11, -v42
	v_add_f32_e32 v42, v42, v43
	v_mul_f32_e32 v43, 0x3f7d64f0, v15
	v_add_f32_e32 v66, v74, v66
	v_fmamk_f32 v74, v14, 0xbe11bafb, v43
	v_fma_f32 v43, v14, s10, -v43
	;; [unrolled: 5-line block ×4, first 2 shown]
	v_mul_f32_e32 v15, 0x3f68dda4, v15
	v_add_f32_e32 v67, v67, v69
	v_fmamk_f32 v69, v14, 0x3ed4b147, v15
	v_fma_f32 v14, v14, s1, -v15
	v_sub_f32_e32 v0, v0, v51
	v_add_f32_e32 v1, v14, v1
	v_add_f32_e32 v14, v31, v57
	v_mul_f32_e32 v15, 0xbe903f40, v0
	v_fmamk_f32 v31, v14, 0xbf75a155, v15
	v_fma_f32 v15, v14, s12, -v15
	v_add_f32_e32 v15, v15, v42
	v_mul_f32_e32 v42, 0x3f0a6770, v0
	v_fmamk_f32 v51, v14, 0x3f575c64, v42
	v_fma_f32 v42, v14, s0, -v42
	;; [unrolled: 4-line block ×3, first 2 shown]
	v_add_f32_e32 v43, v43, v64
	v_mul_f32_e32 v64, 0x3f68dda4, v0
	v_add_f32_e32 v31, v31, v66
	v_fmamk_f32 v66, v14, 0x3ed4b147, v64
	v_fma_f32 v64, v14, s1, -v64
	v_mul_f32_e32 v0, 0xbf7d64f0, v0
	v_add_f32_e32 v73, v78, v73
	v_add_f32_e32 v64, v64, v67
	v_fmamk_f32 v67, v14, 0xbe11bafb, v0
	v_fma_f32 v0, v14, s10, -v0
	v_mov_b32_e32 v14, 2
	v_add_f32_e32 v30, v30, v111
	v_add_f32_e32 v73, v75, v73
	;; [unrolled: 1-line block ×3, first 2 shown]
	v_mul_u32_u24_e32 v1, 0x134, v32
	v_lshlrev_b32_sdwa v14, v14, v33 dst_sel:DWORD dst_unused:UNUSED_PAD src0_sel:DWORD src1_sel:BYTE_0
	v_add_f32_e32 v30, v30, v113
	v_add_f32_e32 v73, v74, v73
	;; [unrolled: 1-line block ×3, first 2 shown]
	v_add3_u32 v1, 0, v1, v14
	v_add_f32_e32 v51, v51, v68
	v_add_f32_e32 v57, v57, v70
	;; [unrolled: 1-line block ×4, first 2 shown]
	ds_write2_b32 v1, v30, v31 offset1:7
	ds_write2_b32 v1, v51, v57 offset0:14 offset1:21
	ds_write2_b32 v1, v66, v67 offset0:28 offset1:35
	;; [unrolled: 1-line block ×4, first 2 shown]
	ds_write_b32 v1, v15 offset:280
.LBB0_21:
	s_or_b64 exec, exec, s[4:5]
	v_subrev_u32_e32 v0, 22, v118
	v_cmp_gt_u32_e64 s[0:1], 22, v118
	v_lshlrev_b32_e32 v30, 2, v118
	v_mov_b32_e32 v31, 0
	v_cndmask_b32_e64 v0, v0, v119, s[0:1]
	v_lshl_add_u64 v[32:33], v[30:31], 3, s[8:9]
	v_lshlrev_b32_e32 v30, 2, v0
	s_waitcnt lgkmcnt(0)
	; wave barrier
	s_waitcnt lgkmcnt(0)
	global_load_dwordx4 v[82:85], v[32:33], off offset:560
	global_load_dwordx4 v[86:89], v[32:33], off offset:576
	v_lshl_add_u64 v[14:15], v[30:31], 3, s[8:9]
	global_load_dwordx4 v[90:93], v[14:15], off offset:560
	s_movk_i32 s0, 0xd5
	ds_read2_b32 v[70:71], v56 offset0:129 offset1:184
	ds_read2_b32 v[42:43], v49 offset0:75 offset1:130
	;; [unrolled: 1-line block ×4, first 2 shown]
	global_load_dwordx4 v[94:97], v[14:15], off offset:576
	v_mul_lo_u16_sdwa v15, v120, s0 dst_sel:DWORD dst_unused:UNUSED_PAD src0_sel:BYTE_0 src1_sel:DWORD
	v_lshrrev_b16_e32 v57, 14, v15
	v_mul_lo_u16_e32 v15, 0x4d, v57
	v_mov_b32_e32 v14, 5
	v_sub_u16_e32 v76, v120, v15
	v_lshlrev_b32_sdwa v14, v14, v76 dst_sel:DWORD dst_unused:UNUSED_PAD src0_sel:DWORD src1_sel:BYTE_0
	ds_read2_b32 v[138:139], v52 offset0:57 offset1:112
	global_load_dwordx4 v[98:101], v14, s[8:9] offset:576
	global_load_dwordx4 v[102:105], v14, s[8:9] offset:560
	v_mul_lo_u16_sdwa v14, v121, s0 dst_sel:DWORD dst_unused:UNUSED_PAD src0_sel:BYTE_0 src1_sel:DWORD
	v_lshrrev_b16_e32 v14, 14, v14
	v_mul_lo_u16_e32 v14, 0x4d, v14
	v_sub_u16_e32 v14, v121, v14
	v_and_b32_e32 v64, 0xff, v14
	s_movk_i32 s0, 0x1a99
	v_add_u32_e32 v51, 0x113, v118
	v_lshlrev_b32_e32 v14, 5, v64
	v_mul_u32_u24_sdwa v68, v122, s0 dst_sel:DWORD dst_unused:UNUSED_PAD src0_sel:WORD_0 src1_sel:DWORD
	ds_read2_b32 v[140:141], v50 offset0:59 offset1:114
	ds_read_b32 v74, v65
	ds_read_b32 v67, v77
	ds_read2_b32 v[142:143], v45 offset0:111 offset1:166
	ds_read2_b32 v[144:145], v44 offset0:113 offset1:168
	ds_read_b32 v73, v72
	ds_read2_b32 v[146:147], v52 offset0:167 offset1:222
	ds_read2_b32 v[148:149], v50 offset0:169 offset1:224
	global_load_dwordx4 v[106:109], v14, s[8:9] offset:576
	global_load_dwordx4 v[110:113], v14, s[8:9] offset:560
	v_mul_u32_u24_sdwa v79, v51, s0 dst_sel:DWORD dst_unused:UNUSED_PAD src0_sel:WORD_0 src1_sel:DWORD
	v_lshrrev_b32_e32 v69, 19, v68
	v_lshrrev_b32_e32 v68, 19, v79
	v_mul_lo_u16_e32 v79, 0x4d, v69
	v_sub_u16_e32 v79, v122, v79
	v_lshlrev_b32_e32 v81, 5, v79
	ds_read_b32 v78, v123
	ds_read_b32 v75, v80
	ds_read2_b32 v[150:151], v60 offset0:93 offset1:148
	ds_read2_b32 v[152:153], v54 offset0:95 offset1:150
	;; [unrolled: 1-line block ×5, first 2 shown]
	global_load_dwordx4 v[114:117], v81, s[8:9] offset:576
	global_load_dwordx4 v[124:127], v81, s[8:9] offset:560
	v_mul_lo_u16_e32 v81, 0x4d, v68
	v_sub_u16_e32 v81, v51, v81
	v_add_u32_e32 v66, 0x14a, v118
	v_lshlrev_b32_e32 v132, 5, v81
	global_load_dwordx4 v[128:131], v132, s[8:9] offset:576
	s_nop 0
	global_load_dwordx4 v[132:135], v132, s[8:9] offset:560
	s_mov_b32 s4, 0x3f737871
	s_mov_b32 s12, 0x3f167918
	;; [unrolled: 1-line block ×3, first 2 shown]
	s_waitcnt vmcnt(11) lgkmcnt(14)
	v_mul_f32_e32 v158, v70, v83
	s_waitcnt vmcnt(10)
	v_mul_f32_e32 v162, v9, v89
	v_mul_f32_e32 v159, v40, v83
	;; [unrolled: 1-line block ×7, first 2 shown]
	v_fmac_f32_e32 v162, v1, v88
	s_waitcnt vmcnt(9)
	v_mul_f32_e32 v1, v71, v91
	v_fmac_f32_e32 v161, v136, v86
	v_fma_f32 v136, v41, v90, -v1
	v_mul_u32_u24_sdwa v1, v66, s0 dst_sel:DWORD dst_unused:UNUSED_PAD src0_sel:WORD_0 src1_sel:DWORD
	v_lshrrev_b32_e32 v1, 19, v1
	v_mul_lo_u16_e32 v1, 0x4d, v1
	v_sub_u16_e32 v1, v66, v1
	v_fmac_f32_e32 v159, v70, v82
	v_fma_f32 v70, v11, v84, -v83
	v_lshlrev_b32_e32 v11, 5, v1
	v_fma_f32 v40, v40, v82, -v158
	v_fmac_f32_e32 v160, v43, v84
	v_fma_f32 v38, v38, v86, -v85
	v_fma_f32 v43, v9, v88, -v87
	global_load_dwordx4 v[82:85], v11, s[8:9] offset:576
	global_load_dwordx4 v[86:89], v11, s[8:9] offset:560
	v_mul_f32_e32 v41, v41, v91
	v_mul_f32_e32 v9, v138, v93
	v_fmac_f32_e32 v41, v71, v90
	v_fma_f32 v71, v36, v92, -v9
	s_waitcnt vmcnt(10)
	v_mul_f32_e32 v9, v137, v95
	v_fma_f32 v90, v39, v94, -v9
	v_mul_f32_e32 v9, v140, v97
	v_fma_f32 v91, v34, v96, -v9
	v_mov_b32_e32 v9, 2
	s_waitcnt vmcnt(8) lgkmcnt(11)
	v_mul_f32_e32 v11, v142, v103
	v_lshlrev_b32_sdwa v9, v9, v76 dst_sel:DWORD dst_unused:UNUSED_PAD src0_sel:DWORD src1_sel:BYTE_0
	v_fma_f32 v76, v28, v102, -v11
	v_mul_f32_e32 v11, v139, v105
	v_mul_f32_e32 v36, v36, v93
	;; [unrolled: 1-line block ×3, first 2 shown]
	v_fma_f32 v93, v37, v104, -v11
	s_waitcnt lgkmcnt(10)
	v_mul_f32_e32 v11, v144, v99
	v_fmac_f32_e32 v36, v138, v92
	v_fmac_f32_e32 v39, v137, v94
	v_mul_f32_e32 v92, v34, v97
	v_fma_f32 v94, v26, v98, -v11
	v_mul_f32_e32 v11, v141, v101
	v_fmac_f32_e32 v92, v140, v96
	v_mul_f32_e32 v95, v26, v99
	v_fma_f32 v96, v35, v100, -v11
	s_waitcnt vmcnt(6)
	v_mul_f32_e32 v11, v143, v111
	v_fmac_f32_e32 v95, v144, v98
	v_mul_f32_e32 v97, v35, v101
	v_fma_f32 v98, v29, v110, -v11
	s_waitcnt lgkmcnt(8)
	v_mul_f32_e32 v11, v146, v113
	v_mul_f32_e32 v28, v28, v103
	v_fmac_f32_e32 v97, v141, v100
	v_fma_f32 v100, v24, v112, -v11
	v_mul_f32_e32 v11, v145, v107
	v_fmac_f32_e32 v28, v142, v102
	v_mul_f32_e32 v37, v37, v105
	v_fma_f32 v102, v27, v106, -v11
	s_waitcnt lgkmcnt(7)
	v_mul_f32_e32 v11, v148, v109
	v_fmac_f32_e32 v37, v139, v104
	v_mul_f32_e32 v103, v27, v107
	v_fma_f32 v104, v22, v108, -v11
	v_mul_f32_e32 v105, v22, v109
	s_waitcnt vmcnt(4) lgkmcnt(4)
	v_mul_f32_e32 v22, v150, v125
	v_fmac_f32_e32 v103, v145, v106
	v_lshlrev_b32_e32 v11, 2, v79
	v_fma_f32 v79, v20, v124, -v22
	v_mul_f32_e32 v106, v20, v125
	v_mul_f32_e32 v20, v147, v127
	;; [unrolled: 1-line block ×3, first 2 shown]
	v_fma_f32 v107, v25, v126, -v20
	s_waitcnt lgkmcnt(3)
	v_mul_f32_e32 v20, v152, v115
	v_fmac_f32_e32 v99, v143, v110
	v_fma_f32 v109, v18, v114, -v20
	v_mul_f32_e32 v110, v18, v115
	v_mul_f32_e32 v18, v149, v117
	s_waitcnt vmcnt(2)
	v_mul_f32_e32 v20, v151, v133
	v_mul_f32_e32 v101, v24, v113
	v_fma_f32 v111, v23, v116, -v18
	v_lshlrev_b32_e32 v18, 2, v81
	v_fma_f32 v81, v21, v132, -v20
	s_waitcnt lgkmcnt(1)
	v_mul_f32_e32 v20, v154, v135
	v_fmac_f32_e32 v101, v146, v112
	v_fmac_f32_e32 v110, v152, v114
	v_mul_f32_e32 v112, v23, v117
	v_fma_f32 v114, v16, v134, -v20
	v_mul_f32_e32 v115, v16, v135
	v_mul_f32_e32 v16, v153, v129
	v_fmac_f32_e32 v112, v149, v116
	v_fma_f32 v116, v19, v128, -v16
	s_waitcnt lgkmcnt(0)
	v_mul_f32_e32 v16, v156, v131
	v_fmac_f32_e32 v106, v150, v124
	v_fma_f32 v124, v12, v130, -v16
	v_fmac_f32_e32 v105, v148, v108
	v_mul_f32_e32 v108, v25, v127
	v_mul_f32_e32 v113, v21, v133
	;; [unrolled: 1-line block ×4, first 2 shown]
	v_sub_f32_e32 v19, v40, v70
	s_waitcnt vmcnt(1)
	v_mul_f32_e32 v16, v0, v83
	s_waitcnt vmcnt(0)
	v_mul_f32_e32 v12, v42, v87
	v_fma_f32 v25, v8, v82, -v16
	v_mul_f32_e32 v21, v8, v83
	v_add_f32_e32 v8, v70, v38
	v_fma_f32 v23, v10, v86, -v12
	v_mul_f32_e32 v12, v155, v89
	v_fmac_f32_e32 v21, v0, v82
	v_mul_f32_e32 v0, v157, v85
	v_fma_f32 v8, -0.5, v8, v58
	v_sub_f32_e32 v16, v159, v162
	v_fma_f32 v24, v17, v88, -v12
	v_mul_f32_e32 v12, v17, v89
	v_fma_f32 v27, v13, v84, -v0
	v_mul_f32_e32 v22, v13, v85
	v_fmamk_f32 v13, v16, 0x3f737871, v8
	v_sub_f32_e32 v17, v160, v161
	v_sub_f32_e32 v20, v43, v38
	v_fmac_f32_e32 v8, 0xbf737871, v16
	v_fmac_f32_e32 v13, 0x3f167918, v17
	v_add_f32_e32 v19, v19, v20
	v_fmac_f32_e32 v8, 0xbf167918, v17
	v_fmac_f32_e32 v13, 0x3e9e377a, v19
	;; [unrolled: 1-line block ×3, first 2 shown]
	v_add_f32_e32 v19, v40, v43
	v_add_f32_e32 v0, v58, v40
	v_fmac_f32_e32 v58, -0.5, v19
	v_fmamk_f32 v26, v17, 0xbf737871, v58
	v_sub_f32_e32 v19, v70, v40
	v_sub_f32_e32 v20, v38, v43
	v_fmac_f32_e32 v58, 0x3f737871, v17
	v_add_f32_e32 v17, v160, v161
	v_fmac_f32_e32 v26, 0x3f167918, v16
	v_add_f32_e32 v19, v19, v20
	v_fmac_f32_e32 v58, 0xbf167918, v16
	v_fma_f32 v17, -0.5, v17, v78
	v_sub_f32_e32 v29, v40, v43
	v_fmac_f32_e32 v26, 0x3e9e377a, v19
	v_fmac_f32_e32 v58, 0x3e9e377a, v19
	v_fmamk_f32 v19, v29, 0xbf737871, v17
	v_sub_f32_e32 v34, v70, v38
	v_sub_f32_e32 v20, v159, v160
	;; [unrolled: 1-line block ×3, first 2 shown]
	v_fmac_f32_e32 v17, 0x3f737871, v29
	v_fmac_f32_e32 v19, 0xbf167918, v34
	v_add_f32_e32 v20, v20, v35
	v_fmac_f32_e32 v17, 0x3f167918, v34
	v_fmac_f32_e32 v19, 0x3e9e377a, v20
	;; [unrolled: 1-line block ×3, first 2 shown]
	v_add_f32_e32 v20, v159, v162
	v_add_f32_e32 v16, v78, v159
	v_fmac_f32_e32 v78, -0.5, v20
	v_fmamk_f32 v20, v34, 0x3f737871, v78
	v_fmac_f32_e32 v78, 0xbf737871, v34
	v_fmac_f32_e32 v20, 0xbf167918, v29
	;; [unrolled: 1-line block ×3, first 2 shown]
	v_add_f32_e32 v29, v63, v136
	v_add_f32_e32 v0, v0, v70
	;; [unrolled: 1-line block ×4, first 2 shown]
	v_sub_f32_e32 v35, v160, v159
	v_sub_f32_e32 v38, v161, v162
	v_add_f32_e32 v29, v29, v90
	v_add_f32_e32 v35, v35, v38
	;; [unrolled: 1-line block ×4, first 2 shown]
	v_mul_f32_e32 v10, v10, v87
	v_fma_f32 v40, -0.5, v29, v63
	v_sub_f32_e32 v29, v41, v92
	v_fmac_f32_e32 v10, v42, v86
	v_add_f32_e32 v0, v0, v43
	v_fmac_f32_e32 v20, 0x3e9e377a, v35
	v_fmac_f32_e32 v78, 0x3e9e377a, v35
	v_fmamk_f32 v42, v29, 0x3f737871, v40
	v_sub_f32_e32 v34, v36, v39
	v_sub_f32_e32 v35, v136, v71
	;; [unrolled: 1-line block ×3, first 2 shown]
	v_fmac_f32_e32 v40, 0xbf737871, v29
	v_fmac_f32_e32 v42, 0x3f167918, v34
	v_add_f32_e32 v35, v35, v43
	v_fmac_f32_e32 v40, 0xbf167918, v34
	v_fmac_f32_e32 v42, 0x3e9e377a, v35
	;; [unrolled: 1-line block ×3, first 2 shown]
	v_add_f32_e32 v35, v136, v91
	v_fmac_f32_e32 v63, -0.5, v35
	v_fmamk_f32 v43, v34, 0xbf737871, v63
	v_sub_f32_e32 v35, v71, v136
	v_sub_f32_e32 v70, v90, v91
	v_fmac_f32_e32 v63, 0x3f737871, v34
	v_add_f32_e32 v34, v36, v39
	v_fmac_f32_e32 v43, 0x3f167918, v29
	v_add_f32_e32 v35, v35, v70
	v_fmac_f32_e32 v63, 0xbf167918, v29
	v_fma_f32 v34, -0.5, v34, v74
	v_sub_f32_e32 v70, v136, v91
	v_fmac_f32_e32 v43, 0x3e9e377a, v35
	v_fmac_f32_e32 v63, 0x3e9e377a, v35
	v_add_f32_e32 v29, v74, v41
	v_fmamk_f32 v35, v70, 0xbf737871, v34
	v_sub_f32_e32 v71, v71, v90
	v_sub_f32_e32 v82, v41, v36
	;; [unrolled: 1-line block ×3, first 2 shown]
	v_fmac_f32_e32 v34, 0x3f737871, v70
	v_add_f32_e32 v29, v29, v36
	v_fmac_f32_e32 v35, 0xbf167918, v71
	v_add_f32_e32 v82, v82, v83
	;; [unrolled: 2-line block ×3, first 2 shown]
	v_fmac_f32_e32 v35, 0x3e9e377a, v82
	v_fmac_f32_e32 v34, 0x3e9e377a, v82
	v_add_f32_e32 v82, v41, v92
	v_sub_f32_e32 v36, v36, v41
	v_sub_f32_e32 v39, v39, v92
	v_fmac_f32_e32 v74, -0.5, v82
	v_add_f32_e32 v36, v36, v39
	v_add_f32_e32 v39, v93, v94
	v_fmamk_f32 v82, v71, 0x3f737871, v74
	v_fmac_f32_e32 v74, 0xbf737871, v71
	v_fma_f32 v39, -0.5, v39, v62
	v_sub_f32_e32 v41, v28, v97
	v_fmac_f32_e32 v22, v157, v84
	v_fmac_f32_e32 v82, 0xbf167918, v70
	;; [unrolled: 1-line block ×3, first 2 shown]
	v_fmamk_f32 v70, v41, 0x3f737871, v39
	v_sub_f32_e32 v71, v37, v95
	v_sub_f32_e32 v83, v76, v93
	;; [unrolled: 1-line block ×3, first 2 shown]
	v_fmac_f32_e32 v39, 0xbf737871, v41
	v_fmac_f32_e32 v70, 0x3f167918, v71
	v_add_f32_e32 v83, v83, v84
	v_fmac_f32_e32 v39, 0xbf167918, v71
	v_fmac_f32_e32 v70, 0x3e9e377a, v83
	;; [unrolled: 1-line block ×3, first 2 shown]
	v_add_f32_e32 v83, v76, v96
	v_fmac_f32_e32 v82, 0x3e9e377a, v36
	v_fmac_f32_e32 v74, 0x3e9e377a, v36
	v_add_f32_e32 v36, v62, v76
	v_fmac_f32_e32 v62, -0.5, v83
	v_fmamk_f32 v83, v71, 0xbf737871, v62
	v_fmac_f32_e32 v62, 0x3f737871, v71
	v_fmac_f32_e32 v83, 0x3f167918, v41
	;; [unrolled: 1-line block ×3, first 2 shown]
	v_add_f32_e32 v41, v67, v28
	v_sub_f32_e32 v84, v93, v76
	v_sub_f32_e32 v85, v94, v96
	v_add_f32_e32 v41, v41, v37
	v_add_f32_e32 v84, v84, v85
	;; [unrolled: 1-line block ×3, first 2 shown]
	v_fmac_f32_e32 v83, 0x3e9e377a, v84
	v_fmac_f32_e32 v62, 0x3e9e377a, v84
	v_add_f32_e32 v84, v41, v97
	v_add_f32_e32 v41, v37, v95
	v_fma_f32 v85, -0.5, v41, v67
	v_sub_f32_e32 v41, v76, v96
	v_fmamk_f32 v86, v41, 0xbf737871, v85
	v_sub_f32_e32 v71, v93, v94
	v_sub_f32_e32 v76, v28, v37
	;; [unrolled: 1-line block ×3, first 2 shown]
	v_fmac_f32_e32 v85, 0x3f737871, v41
	v_fmac_f32_e32 v86, 0xbf167918, v71
	v_add_f32_e32 v76, v76, v87
	v_fmac_f32_e32 v85, 0x3f167918, v71
	v_fmac_f32_e32 v86, 0x3e9e377a, v76
	;; [unrolled: 1-line block ×3, first 2 shown]
	v_add_f32_e32 v76, v28, v97
	v_fmac_f32_e32 v67, -0.5, v76
	v_sub_f32_e32 v28, v37, v28
	v_sub_f32_e32 v37, v95, v97
	v_fmamk_f32 v87, v71, 0x3f737871, v67
	v_add_f32_e32 v28, v28, v37
	v_fmac_f32_e32 v67, 0xbf737871, v71
	v_add_f32_e32 v37, v100, v102
	v_fmac_f32_e32 v87, 0xbf167918, v41
	v_fmac_f32_e32 v67, 0x3f167918, v41
	v_fma_f32 v37, -0.5, v37, v59
	v_sub_f32_e32 v41, v99, v105
	v_fmac_f32_e32 v12, v155, v88
	v_fmamk_f32 v71, v41, 0x3f737871, v37
	v_sub_f32_e32 v76, v101, v103
	v_sub_f32_e32 v88, v98, v100
	;; [unrolled: 1-line block ×3, first 2 shown]
	v_fmac_f32_e32 v37, 0xbf737871, v41
	v_fmac_f32_e32 v71, 0x3f167918, v76
	v_add_f32_e32 v88, v88, v89
	v_fmac_f32_e32 v37, 0xbf167918, v76
	v_fmac_f32_e32 v71, 0x3e9e377a, v88
	;; [unrolled: 1-line block ×3, first 2 shown]
	v_add_f32_e32 v88, v98, v104
	v_fmac_f32_e32 v87, 0x3e9e377a, v28
	v_fmac_f32_e32 v67, 0x3e9e377a, v28
	v_add_f32_e32 v28, v59, v98
	v_fmac_f32_e32 v59, -0.5, v88
	v_fmamk_f32 v88, v76, 0xbf737871, v59
	v_fmac_f32_e32 v59, 0x3f737871, v76
	v_fmac_f32_e32 v88, 0x3f167918, v41
	;; [unrolled: 1-line block ×3, first 2 shown]
	v_add_f32_e32 v41, v73, v99
	v_sub_f32_e32 v89, v100, v98
	v_sub_f32_e32 v90, v102, v104
	v_add_f32_e32 v41, v41, v101
	v_add_f32_e32 v89, v89, v90
	;; [unrolled: 1-line block ×3, first 2 shown]
	v_fmac_f32_e32 v88, 0x3e9e377a, v89
	v_fmac_f32_e32 v59, 0x3e9e377a, v89
	v_add_f32_e32 v89, v41, v105
	v_add_f32_e32 v41, v101, v103
	v_fma_f32 v90, -0.5, v41, v73
	v_sub_f32_e32 v41, v98, v104
	v_add_f32_e32 v29, v29, v92
	v_add_f32_e32 v36, v36, v93
	v_fmamk_f32 v91, v41, 0xbf737871, v90
	v_sub_f32_e32 v76, v100, v102
	v_sub_f32_e32 v92, v99, v101
	;; [unrolled: 1-line block ×3, first 2 shown]
	v_fmac_f32_e32 v90, 0x3f737871, v41
	v_fmac_f32_e32 v91, 0xbf167918, v76
	v_add_f32_e32 v92, v92, v93
	v_fmac_f32_e32 v90, 0x3f167918, v76
	v_fmac_f32_e32 v91, 0x3e9e377a, v92
	;; [unrolled: 1-line block ×3, first 2 shown]
	v_add_f32_e32 v92, v99, v105
	v_fmac_f32_e32 v73, -0.5, v92
	v_add_f32_e32 v36, v36, v94
	v_fmamk_f32 v92, v76, 0x3f737871, v73
	v_sub_f32_e32 v93, v101, v99
	v_sub_f32_e32 v94, v103, v105
	v_fmac_f32_e32 v73, 0xbf737871, v76
	v_fmac_f32_e32 v92, 0xbf167918, v41
	v_add_f32_e32 v93, v93, v94
	v_fmac_f32_e32 v73, 0x3f167918, v41
	v_add_f32_e32 v76, v107, v109
	v_fmac_f32_e32 v108, v147, v126
	v_fmac_f32_e32 v92, 0x3e9e377a, v93
	;; [unrolled: 1-line block ×3, first 2 shown]
	v_fma_f32 v76, -0.5, v76, v61
	v_sub_f32_e32 v93, v106, v112
	v_add_f32_e32 v36, v36, v96
	v_fmamk_f32 v94, v93, 0x3f737871, v76
	v_sub_f32_e32 v95, v108, v110
	v_sub_f32_e32 v96, v79, v107
	;; [unrolled: 1-line block ×3, first 2 shown]
	v_fmac_f32_e32 v76, 0xbf737871, v93
	v_fmac_f32_e32 v94, 0x3f167918, v95
	v_add_f32_e32 v96, v96, v97
	v_fmac_f32_e32 v76, 0xbf167918, v95
	v_fmac_f32_e32 v94, 0x3e9e377a, v96
	;; [unrolled: 1-line block ×3, first 2 shown]
	v_add_f32_e32 v96, v79, v111
	v_add_f32_e32 v41, v61, v79
	v_fmac_f32_e32 v61, -0.5, v96
	v_fmamk_f32 v96, v95, 0xbf737871, v61
	v_sub_f32_e32 v97, v107, v79
	v_sub_f32_e32 v98, v109, v111
	v_fmac_f32_e32 v61, 0x3f737871, v95
	v_add_f32_e32 v95, v108, v110
	v_fmac_f32_e32 v96, 0x3f167918, v93
	v_add_f32_e32 v97, v97, v98
	v_fmac_f32_e32 v61, 0xbf167918, v93
	v_fma_f32 v95, -0.5, v95, v75
	v_sub_f32_e32 v79, v79, v111
	v_add_f32_e32 v28, v28, v100
	v_fmac_f32_e32 v96, 0x3e9e377a, v97
	v_fmac_f32_e32 v61, 0x3e9e377a, v97
	v_fmamk_f32 v97, v79, 0xbf737871, v95
	v_sub_f32_e32 v98, v107, v109
	v_sub_f32_e32 v99, v106, v108
	;; [unrolled: 1-line block ×3, first 2 shown]
	v_fmac_f32_e32 v95, 0x3f737871, v79
	v_fmac_f32_e32 v97, 0xbf167918, v98
	v_add_f32_e32 v99, v99, v100
	v_fmac_f32_e32 v95, 0x3f167918, v98
	v_fmac_f32_e32 v97, 0x3e9e377a, v99
	;; [unrolled: 1-line block ×3, first 2 shown]
	v_add_f32_e32 v99, v106, v112
	v_add_f32_e32 v93, v75, v106
	v_fmac_f32_e32 v75, -0.5, v99
	v_fmamk_f32 v99, v98, 0x3f737871, v75
	v_sub_f32_e32 v100, v108, v106
	v_sub_f32_e32 v101, v110, v112
	v_fmac_f32_e32 v75, 0xbf737871, v98
	v_fmac_f32_e32 v113, v151, v132
	;; [unrolled: 1-line block ×4, first 2 shown]
	v_add_f32_e32 v100, v100, v101
	v_fmac_f32_e32 v75, 0x3f167918, v79
	v_add_f32_e32 v98, v114, v116
	v_fmac_f32_e32 v115, v154, v134
	v_fmac_f32_e32 v117, v153, v128
	v_add_f32_e32 v28, v28, v102
	v_fmac_f32_e32 v99, 0x3e9e377a, v100
	v_fmac_f32_e32 v75, 0x3e9e377a, v100
	v_fma_f32 v98, -0.5, v98, v6
	v_sub_f32_e32 v100, v113, v125
	v_add_f32_e32 v28, v28, v104
	v_fmamk_f32 v101, v100, 0x3f737871, v98
	v_sub_f32_e32 v102, v115, v117
	v_sub_f32_e32 v103, v81, v114
	;; [unrolled: 1-line block ×3, first 2 shown]
	v_fmac_f32_e32 v98, 0xbf737871, v100
	v_fmac_f32_e32 v101, 0x3f167918, v102
	v_add_f32_e32 v103, v103, v104
	v_fmac_f32_e32 v98, 0xbf167918, v102
	v_fmac_f32_e32 v101, 0x3e9e377a, v103
	v_fmac_f32_e32 v98, 0x3e9e377a, v103
	v_add_f32_e32 v103, v81, v124
	v_add_f32_e32 v79, v6, v81
	v_fma_f32 v6, -0.5, v103, v6
	v_fmamk_f32 v103, v102, 0xbf737871, v6
	v_sub_f32_e32 v104, v114, v81
	v_sub_f32_e32 v105, v116, v124
	v_fmac_f32_e32 v6, 0x3f737871, v102
	v_add_f32_e32 v102, v115, v117
	v_fmac_f32_e32 v103, 0x3f167918, v100
	v_add_f32_e32 v104, v104, v105
	v_fmac_f32_e32 v6, 0xbf167918, v100
	v_fma_f32 v102, -0.5, v102, v14
	v_sub_f32_e32 v81, v81, v124
	v_add_f32_e32 v41, v41, v107
	v_fmac_f32_e32 v103, 0x3e9e377a, v104
	v_fmac_f32_e32 v6, 0x3e9e377a, v104
	v_fmamk_f32 v104, v81, 0xbf737871, v102
	v_sub_f32_e32 v105, v114, v116
	v_sub_f32_e32 v106, v113, v115
	;; [unrolled: 1-line block ×3, first 2 shown]
	v_fmac_f32_e32 v102, 0x3f737871, v81
	v_fmac_f32_e32 v104, 0xbf167918, v105
	v_add_f32_e32 v106, v106, v107
	v_fmac_f32_e32 v102, 0x3f167918, v105
	v_fmac_f32_e32 v104, 0x3e9e377a, v106
	;; [unrolled: 1-line block ×3, first 2 shown]
	v_add_f32_e32 v106, v113, v125
	v_add_f32_e32 v100, v14, v113
	v_fma_f32 v14, -0.5, v106, v14
	v_add_f32_e32 v93, v93, v108
	v_fmamk_f32 v106, v105, 0x3f737871, v14
	v_sub_f32_e32 v107, v115, v113
	v_sub_f32_e32 v108, v117, v125
	v_fmac_f32_e32 v14, 0xbf737871, v105
	v_fmac_f32_e32 v106, 0xbf167918, v81
	v_add_f32_e32 v107, v107, v108
	v_fmac_f32_e32 v14, 0x3f167918, v81
	v_add_f32_e32 v105, v24, v25
	v_add_f32_e32 v41, v41, v109
	v_fmac_f32_e32 v106, 0x3e9e377a, v107
	v_fmac_f32_e32 v14, 0x3e9e377a, v107
	v_fma_f32 v105, -0.5, v105, v7
	v_sub_f32_e32 v107, v10, v22
	v_add_f32_e32 v41, v41, v111
	v_add_f32_e32 v93, v93, v110
	v_fmamk_f32 v108, v107, 0x3f737871, v105
	v_sub_f32_e32 v109, v12, v21
	v_sub_f32_e32 v110, v23, v24
	;; [unrolled: 1-line block ×3, first 2 shown]
	v_fmac_f32_e32 v105, 0xbf737871, v107
	v_fmac_f32_e32 v108, 0x3f167918, v109
	v_add_f32_e32 v110, v110, v111
	v_fmac_f32_e32 v105, 0xbf167918, v109
	v_fmac_f32_e32 v108, 0x3e9e377a, v110
	;; [unrolled: 1-line block ×3, first 2 shown]
	v_add_f32_e32 v110, v23, v27
	v_add_f32_e32 v81, v7, v23
	v_fmac_f32_e32 v7, -0.5, v110
	v_add_f32_e32 v93, v93, v112
	v_add_f32_e32 v81, v81, v24
	v_fmamk_f32 v110, v109, 0xbf737871, v7
	v_sub_f32_e32 v111, v24, v23
	v_sub_f32_e32 v112, v25, v27
	v_fmac_f32_e32 v7, 0x3f737871, v109
	v_add_f32_e32 v109, v12, v21
	v_add_f32_e32 v81, v81, v25
	v_fmac_f32_e32 v110, 0x3f167918, v107
	v_add_f32_e32 v111, v111, v112
	v_fmac_f32_e32 v7, 0xbf167918, v107
	v_fma_f32 v109, -0.5, v109, v15
	v_sub_f32_e32 v23, v23, v27
	v_add_f32_e32 v81, v81, v27
	v_fmac_f32_e32 v110, 0x3e9e377a, v111
	v_fmac_f32_e32 v7, 0x3e9e377a, v111
	v_fmamk_f32 v111, v23, 0xbf737871, v109
	v_sub_f32_e32 v24, v24, v25
	v_sub_f32_e32 v25, v10, v12
	;; [unrolled: 1-line block ×3, first 2 shown]
	v_fmac_f32_e32 v109, 0x3f737871, v23
	v_add_f32_e32 v107, v15, v10
	v_fmac_f32_e32 v111, 0xbf167918, v24
	v_add_f32_e32 v25, v25, v27
	v_fmac_f32_e32 v109, 0x3f167918, v24
	s_waitcnt lgkmcnt(0)
	; wave barrier
	ds_write2_b32 v123, v0, v13 offset1:77
	ds_write2_b32 v123, v26, v58 offset0:154 offset1:231
	ds_write_b32 v123, v8 offset:1232
	v_mov_b32_e32 v0, 0x604
	v_cmp_lt_u32_e64 s[0:1], 21, v118
	v_add_f32_e32 v107, v107, v12
	v_fmac_f32_e32 v111, 0x3e9e377a, v25
	v_fmac_f32_e32 v109, 0x3e9e377a, v25
	v_add_f32_e32 v25, v10, v22
	v_cndmask_b32_e64 v0, 0, v0, s[0:1]
	v_add_f32_e32 v107, v107, v21
	v_fmac_f32_e32 v15, -0.5, v25
	v_sub_f32_e32 v10, v12, v10
	v_sub_f32_e32 v12, v21, v22
	v_add3_u32 v21, 0, v0, v30
	v_mul_u32_u24_e32 v0, 0x604, v57
	v_add_f32_e32 v79, v79, v114
	v_add_f32_e32 v107, v107, v22
	v_fmamk_f32 v112, v24, 0x3f737871, v15
	v_fmac_f32_e32 v15, 0xbf737871, v24
	v_add3_u32 v22, 0, v0, v9
	v_mul_u32_u24_e32 v0, 0x604, v69
	v_add_f32_e32 v79, v79, v116
	v_fmac_f32_e32 v112, 0xbf167918, v23
	v_fmac_f32_e32 v15, 0x3f167918, v23
	ds_write2_b32 v21, v38, v42 offset1:77
	ds_write2_b32 v21, v43, v63 offset0:154 offset1:231
	ds_write_b32 v21, v40 offset:1232
	ds_write2_b32 v22, v36, v70 offset1:77
	ds_write2_b32 v22, v83, v62 offset0:154 offset1:231
	ds_write_b32 v22, v39 offset:1232
	v_lshl_add_u32 v23, v64, 2, 0
	v_add3_u32 v38, 0, v0, v11
	v_mul_u32_u24_e32 v0, 0x604, v68
	v_lshl_add_u32 v39, v1, 2, 0
	v_add_f32_e32 v79, v79, v124
	v_add_f32_e32 v10, v10, v12
	v_add_u32_e32 v30, 0xc00, v23
	v_add3_u32 v18, 0, v0, v18
	v_add_u32_e32 v43, 0x1800, v39
	v_fmac_f32_e32 v112, 0x3e9e377a, v10
	v_fmac_f32_e32 v15, 0x3e9e377a, v10
	ds_write2_b32 v30, v28, v71 offset0:2 offset1:79
	ds_write2_b32 v30, v88, v59 offset0:156 offset1:233
	ds_write_b32 v23, v37 offset:4312
	ds_write2_b32 v38, v41, v94 offset1:77
	ds_write2_b32 v38, v96, v61 offset0:154 offset1:231
	ds_write_b32 v38, v76 offset:1232
	ds_write2_b32 v18, v79, v101 offset1:77
	ds_write2_b32 v18, v103, v6 offset0:154 offset1:231
	ds_write_b32 v18, v98 offset:1232
	ds_write2_b32 v43, v81, v108 offset0:4 offset1:81
	ds_write2_b32 v43, v110, v7 offset0:158 offset1:235
	ds_write_b32 v39, v105 offset:7392
	s_waitcnt lgkmcnt(0)
	; wave barrier
	s_waitcnt lgkmcnt(0)
	ds_read_b32 v76, v123
	ds_read2_b32 v[68:69], v56 offset0:129 offset1:184
	ds_read2_b32 v[0:1], v49 offset0:75 offset1:130
	;; [unrolled: 1-line block ×8, first 2 shown]
	ds_read_b32 v42, v72
	ds_read2_b32 v[40:41], v52 offset0:167 offset1:222
	ds_read2_b32 v[36:37], v50 offset0:169 offset1:224
	ds_read_b32 v52, v77
	ds_read_b32 v64, v65
	;; [unrolled: 1-line block ×3, first 2 shown]
	ds_read2_b32 v[24:25], v60 offset0:93 offset1:148
	ds_read2_b32 v[26:27], v54 offset0:95 offset1:150
	;; [unrolled: 1-line block ×5, first 2 shown]
	v_add_f32_e32 v16, v16, v160
	v_add_f32_e32 v16, v16, v161
	;; [unrolled: 1-line block ×6, first 2 shown]
	s_waitcnt lgkmcnt(0)
	; wave barrier
	s_waitcnt lgkmcnt(0)
	ds_write2_b32 v123, v16, v19 offset1:77
	ds_write2_b32 v123, v20, v78 offset0:154 offset1:231
	ds_write_b32 v123, v17 offset:1232
	ds_write2_b32 v21, v29, v35 offset1:77
	ds_write2_b32 v21, v82, v74 offset0:154 offset1:231
	ds_write_b32 v21, v34 offset:1232
	;; [unrolled: 3-line block ×3, first 2 shown]
	ds_write2_b32 v30, v89, v91 offset0:2 offset1:79
	ds_write2_b32 v30, v92, v73 offset0:156 offset1:233
	ds_write_b32 v23, v90 offset:4312
	ds_write2_b32 v38, v93, v97 offset1:77
	ds_write2_b32 v38, v99, v75 offset0:154 offset1:231
	ds_write_b32 v38, v95 offset:1232
	ds_write2_b32 v18, v100, v104 offset1:77
	ds_write2_b32 v18, v106, v14 offset0:154 offset1:231
	ds_write_b32 v18, v102 offset:1232
	ds_write2_b32 v43, v107, v111 offset0:4 offset1:81
	ds_write2_b32 v43, v112, v15 offset0:158 offset1:235
	ds_write_b32 v39, v109 offset:7392
	s_waitcnt lgkmcnt(0)
	; wave barrier
	s_waitcnt lgkmcnt(0)
	s_and_saveexec_b64 s[0:1], vcc
	s_cbranch_execz .LBB0_23
; %bb.22:
	v_mul_lo_u32 v14, s3, v4
	v_mul_lo_u32 v5, s2, v5
	v_mad_u64_u32 v[90:91], s[0:1], s2, v4, 0
	v_add_u32_e32 v4, 0xa00, v123
	v_add3_u32 v91, v91, v5, v14
	ds_read2_b32 v[14:15], v4 offset0:75 offset1:130
	v_add_u32_e32 v4, 0x1c00, v123
	ds_read2_b32 v[16:17], v4 offset0:23 offset1:78
	v_add_u32_e32 v4, 0x1600, v123
	v_add_u32_e32 v29, 0x1000, v123
	ds_read2_b32 v[18:19], v4 offset0:77 offset1:132
	v_add_u32_e32 v4, 0x400, v46
	ds_read2_b32 v[20:21], v29 offset0:21 offset1:76
	ds_read2_b32 v[4:5], v4 offset0:19 offset1:74
	global_load_dwordx4 v[82:85], v[32:33], off offset:3040
	global_load_dwordx4 v[86:89], v[32:33], off offset:3024
	v_lshlrev_b32_e32 v30, 2, v66
	v_lshl_add_u64 v[22:23], v[30:31], 3, s[8:9]
	v_lshlrev_b32_e32 v30, 2, v51
	v_lshl_add_u64 v[34:35], v[30:31], 3, s[8:9]
	v_add_u32_e32 v30, 0x800, v123
	ds_read2_b32 v[32:33], v30 offset0:93 offset1:148
	v_add_u32_e32 v30, 0x1400, v123
	ds_read2_b32 v[38:39], v30 offset0:95 offset1:150
	v_lshlrev_b32_e32 v30, 2, v122
	v_lshl_add_u64 v[54:55], v[30:31], 3, s[8:9]
	v_lshlrev_b32_e32 v30, 2, v121
	v_lshl_add_u64 v[66:67], v[30:31], 3, s[8:9]
	v_add_u32_e32 v30, 0x600, v123
	v_add_u32_e32 v53, 0xc00, v123
	;; [unrolled: 1-line block ×3, first 2 shown]
	ds_read2_b32 v[62:63], v30 offset0:111 offset1:166
	v_add_u32_e32 v30, 0x1200, v123
	ds_read2_b32 v[50:51], v53 offset0:167 offset1:222
	ds_read2_b32 v[46:47], v73 offset0:169 offset1:224
	;; [unrolled: 1-line block ×3, first 2 shown]
	ds_read_b32 v43, v72
	v_lshlrev_b32_e32 v30, 2, v120
	v_lshl_add_u64 v[78:79], v[30:31], 3, s[8:9]
	v_lshlrev_b32_e32 v30, 2, v119
	v_lshl_add_u64 v[92:93], v[30:31], 3, s[8:9]
	v_add_u32_e32 v30, 0x400, v123
	s_mov_b32 s0, 0x551c979b
	ds_read2_b32 v[74:75], v53 offset0:57 offset1:112
	ds_read2_b32 v[72:73], v73 offset0:59 offset1:114
	ds_read2_b32 v[30:31], v30 offset0:129 offset1:184
	ds_read2_b32 v[94:95], v29 offset0:131 offset1:186
	ds_read_b32 v53, v77
	ds_read_b32 v65, v65
	;; [unrolled: 1-line block ×4, first 2 shown]
	v_mul_hi_u32 v80, v118, s0
	v_lshrrev_b32_e32 v80, 7, v80
	v_mul_u32_u24_e32 v80, 0x181, v80
	v_sub_u32_e32 v102, v118, v80
	v_mad_u64_u32 v[80:81], s[2:3], s16, v102, 0
	v_mov_b32_e32 v96, v81
	v_mad_u64_u32 v[96:97], s[2:3], s17, v102, v[96:97]
	v_lshl_add_u64 v[90:91], v[90:91], 3, s[6:7]
	v_mov_b32_e32 v81, v96
	v_lshl_add_u64 v[2:3], v[2:3], 3, v[90:91]
	v_add_u32_e32 v97, 0x181, v102
	v_lshl_add_u64 v[90:91], v[80:81], 3, v[2:3]
	v_mad_u64_u32 v[80:81], s[2:3], s16, v97, 0
	v_mov_b32_e32 v96, v81
	v_mad_u64_u32 v[96:97], s[2:3], s17, v97, v[96:97]
	v_mov_b32_e32 v81, v96
	v_add_u32_e32 v99, 0x302, v102
	v_lshl_add_u64 v[96:97], v[80:81], 3, v[2:3]
	v_mad_u64_u32 v[80:81], s[2:3], s16, v99, 0
	v_mov_b32_e32 v98, v81
	v_mad_u64_u32 v[98:99], s[2:3], s17, v99, v[98:99]
	v_mov_b32_e32 v81, v98
	;; [unrolled: 6-line block ×4, first 2 shown]
	s_waitcnt lgkmcnt(14)
	v_mov_b32_e32 v106, v15
	v_lshl_add_u64 v[102:103], v[80:81], 3, v[2:3]
	v_mov_b32_e32 v80, v1
	v_mov_b32_e32 v104, v1
	v_add_u32_e32 v1, 55, v118
	s_movk_i32 s1, 0x785
	s_waitcnt vmcnt(0)
	v_pk_mul_f32 v[106:107], v[88:89], v[106:107] op_sel_hi:[1,0]
	s_nop 0
	v_pk_fma_f32 v[108:109], v[80:81], v[88:89], v[106:107] op_sel:[0,0,1] op_sel_hi:[1,1,0] neg_lo:[0,0,1] neg_hi:[0,0,1]
	v_pk_fma_f32 v[80:81], v[104:105], v[88:89], v[106:107] op_sel:[0,0,1] op_sel_hi:[0,1,0]
	v_mov_b32_e32 v109, v81
	s_waitcnt lgkmcnt(4)
	v_pk_mul_f32 v[80:81], v[82:83], v[94:95] op_sel_hi:[1,0]
	s_nop 0
	v_pk_fma_f32 v[88:89], v[70:71], v[82:83], v[80:81] op_sel:[0,0,1] op_sel_hi:[1,1,0] neg_lo:[0,0,1] neg_hi:[0,0,1]
	v_pk_fma_f32 v[80:81], v[70:71], v[82:83], v[80:81] op_sel:[0,0,1] op_sel_hi:[0,1,0]
	v_mov_b32_e32 v89, v81
	v_pk_mul_f32 v[80:81], v[86:87], v[30:31] op_sel_hi:[1,0]
	v_mov_b32_e32 v70, v19
	v_pk_fma_f32 v[104:105], v[68:69], v[86:87], v[80:81] op_sel:[0,0,1] op_sel_hi:[1,1,0] neg_lo:[0,0,1] neg_hi:[0,0,1]
	v_pk_fma_f32 v[80:81], v[68:69], v[86:87], v[80:81] op_sel:[0,0,1] op_sel_hi:[0,1,0]
	v_mov_b32_e32 v105, v81
	v_mov_b32_e32 v30, v7
	;; [unrolled: 1-line block ×3, first 2 shown]
	v_pk_mul_f32 v[80:81], v[84:85], v[70:71] op_sel_hi:[1,0]
	s_waitcnt lgkmcnt(0)
	v_pk_add_f32 v[122:123], v[76:77], v[104:105]
	v_pk_fma_f32 v[106:107], v[30:31], v[84:85], v[80:81] op_sel:[0,0,1] op_sel_hi:[1,1,0] neg_lo:[0,0,1] neg_hi:[0,0,1]
	v_pk_fma_f32 v[80:81], v[68:69], v[84:85], v[80:81] op_sel:[0,0,1] op_sel_hi:[0,1,0]
	v_mov_b32_e32 v107, v81
	v_pk_add_f32 v[80:81], v[104:105], v[108:109] neg_lo:[0,1] neg_hi:[0,1]
	v_pk_add_f32 v[82:83], v[106:107], v[88:89] neg_lo:[0,1] neg_hi:[0,1]
	;; [unrolled: 1-line block ×3, first 2 shown]
	v_pk_add_f32 v[110:111], v[80:81], v[82:83]
	v_pk_add_f32 v[80:81], v[108:109], v[88:89]
	v_pk_add_f32 v[116:117], v[108:109], v[88:89] neg_lo:[0,1] neg_hi:[0,1]
	v_pk_fma_f32 v[112:113], v[80:81], 0.5, v[76:77] op_sel_hi:[1,0,1] neg_lo:[1,0,0] neg_hi:[1,0,0]
	global_load_dwordx4 v[80:83], v[92:93], off offset:3040
	global_load_dwordx4 v[84:87], v[92:93], off offset:3024
	v_pk_fma_f32 v[92:93], v[114:115], s[4:5], v[112:113] op_sel:[1,0,0] op_sel_hi:[0,0,1] neg_lo:[1,0,0] neg_hi:[1,0,0]
	v_pk_fma_f32 v[112:113], v[114:115], s[4:5], v[112:113] op_sel:[1,0,0] op_sel_hi:[0,0,1]
	v_pk_add_f32 v[122:123], v[122:123], v[108:109]
	v_pk_fma_f32 v[112:113], v[116:117], s[12:13], v[112:113] op_sel:[1,0,0] op_sel_hi:[0,0,1]
	v_pk_fma_f32 v[92:93], v[116:117], s[12:13], v[92:93] op_sel:[1,0,0] op_sel_hi:[0,0,1] neg_lo:[1,0,0] neg_hi:[1,0,0]
	v_pk_add_f32 v[122:123], v[122:123], v[88:89]
	v_mov_b32_e32 v121, v113
	v_pk_add_f32 v[122:123], v[106:107], v[122:123]
	v_mov_b32_e32 v113, v93
	global_store_dwordx2 v[90:91], v[122:123], off
	v_pk_fma_f32 v[90:91], v[110:111], s[10:11], v[112:113] op_sel_hi:[1,0,1]
	global_store_dwordx2 v[96:97], v[90:91], off
	v_pk_add_f32 v[90:91], v[108:109], v[104:105] neg_lo:[0,1] neg_hi:[0,1]
	v_pk_add_f32 v[88:89], v[88:89], v[106:107] neg_lo:[0,1] neg_hi:[0,1]
	v_mul_hi_u32 v7, v1, s0
	v_pk_add_f32 v[88:89], v[90:91], v[88:89]
	v_pk_add_f32 v[90:91], v[104:105], v[106:107]
	v_lshrrev_b32_e32 v7, 7, v7
	v_pk_fma_f32 v[76:77], v[90:91], 0.5, v[76:77] op_sel_hi:[1,0,1] neg_lo:[1,0,0] neg_hi:[1,0,0]
	v_mul_u32_u24_e32 v15, 0x181, v7
	v_pk_fma_f32 v[90:91], v[116:117], s[4:5], v[76:77] op_sel:[1,0,0] op_sel_hi:[0,0,1]
	v_pk_fma_f32 v[76:77], v[116:117], s[4:5], v[76:77] op_sel:[1,0,0] op_sel_hi:[0,0,1] neg_lo:[1,0,0] neg_hi:[1,0,0]
	v_pk_fma_f32 v[76:77], v[114:115], s[12:13], v[76:77] op_sel:[1,0,0] op_sel_hi:[0,0,1]
	v_pk_fma_f32 v[90:91], v[114:115], s[12:13], v[90:91] op_sel:[1,0,0] op_sel_hi:[0,0,1] neg_lo:[1,0,0] neg_hi:[1,0,0]
	v_mov_b32_e32 v93, v77
	v_mov_b32_e32 v77, v91
	v_sub_u32_e32 v1, v1, v15
	v_mov_b32_e32 v120, v92
	v_mov_b32_e32 v92, v90
	v_pk_fma_f32 v[76:77], v[88:89], s[10:11], v[76:77] op_sel_hi:[1,0,1]
	v_mad_u32_u24 v1, v7, s1, v1
	v_pk_fma_f32 v[120:121], v[110:111], s[10:11], v[120:121] op_sel_hi:[1,0,1]
	v_pk_fma_f32 v[92:93], v[88:89], s[10:11], v[92:93] op_sel_hi:[1,0,1]
	global_store_dwordx2 v[98:99], v[76:77], off
	global_store_dwordx2 v[100:101], v[92:93], off
	;; [unrolled: 1-line block ×3, first 2 shown]
	v_mad_u64_u32 v[76:77], s[2:3], s16, v1, 0
	v_mov_b32_e32 v30, v77
	v_mad_u64_u32 v[88:89], s[2:3], s17, v1, v[30:31]
	v_add_u32_e32 v7, 0x181, v1
	v_mov_b32_e32 v77, v88
	v_mad_u64_u32 v[88:89], s[2:3], s16, v7, 0
	v_mov_b32_e32 v30, v89
	v_mad_u64_u32 v[90:91], s[2:3], s17, v7, v[30:31]
	v_add_u32_e32 v7, 0x302, v1
	v_mov_b32_e32 v89, v90
	;; [unrolled: 5-line block ×4, first 2 shown]
	v_mad_u64_u32 v[96:97], s[2:3], s16, v1, 0
	v_mov_b32_e32 v30, v97
	v_mad_u64_u32 v[98:99], s[2:3], s17, v1, v[30:31]
	v_mov_b32_e32 v97, v98
	v_mov_b32_e32 v68, v95
	v_mov_b32_e32 v30, v71
	v_lshl_add_u64 v[76:77], v[76:77], 3, v[2:3]
	v_lshl_add_u64 v[88:89], v[88:89], 3, v[2:3]
	v_add_u32_e32 v1, 0x6e, v118
	v_mul_hi_u32 v7, v1, s0
	v_lshrrev_b32_e32 v7, 7, v7
	v_mul_u32_u24_e32 v15, 0x181, v7
	v_sub_u32_e32 v1, v1, v15
	v_lshl_add_u64 v[90:91], v[90:91], 3, v[2:3]
	v_mad_u32_u24 v1, v7, s1, v1
	s_waitcnt vmcnt(5)
	v_pk_mul_f32 v[98:99], v[86:87], v[74:75] op_sel_hi:[1,0]
	v_lshl_add_u64 v[92:93], v[92:93], 3, v[2:3]
	v_pk_fma_f32 v[100:101], v[58:59], v[86:87], v[98:99] op_sel:[0,0,1] op_sel_hi:[1,1,0] neg_lo:[0,0,1] neg_hi:[0,0,1]
	v_pk_fma_f32 v[86:87], v[58:59], v[86:87], v[98:99] op_sel:[0,0,1] op_sel_hi:[0,1,0]
	v_mov_b32_e32 v58, v71
	v_pk_mul_f32 v[70:71], v[80:81], v[68:69] op_sel_hi:[1,0]
	v_mov_b32_e32 v68, v31
	v_mov_b32_e32 v101, v87
	v_pk_fma_f32 v[86:87], v[30:31], v[80:81], v[70:71] op_sel:[0,0,1] op_sel_hi:[1,1,0] neg_lo:[0,0,1] neg_hi:[0,0,1]
	v_pk_fma_f32 v[70:71], v[58:59], v[80:81], v[70:71] op_sel:[0,0,1] op_sel_hi:[0,1,0]
	v_mov_b32_e32 v30, v69
	v_mov_b32_e32 v58, v69
	v_pk_mul_f32 v[68:69], v[84:85], v[68:69] op_sel_hi:[1,0]
	v_mov_b32_e32 v87, v71
	v_pk_fma_f32 v[30:31], v[30:31], v[84:85], v[68:69] op_sel:[0,0,1] op_sel_hi:[1,1,0] neg_lo:[0,0,1] neg_hi:[0,0,1]
	v_pk_fma_f32 v[68:69], v[58:59], v[84:85], v[68:69] op_sel:[0,0,1] op_sel_hi:[0,1,0]
	v_mov_b32_e32 v31, v69
	v_pk_mul_f32 v[68:69], v[82:83], v[72:73] op_sel_hi:[1,0]
	v_pk_add_f32 v[108:109], v[64:65], v[30:31]
	v_pk_fma_f32 v[84:85], v[56:57], v[82:83], v[68:69] op_sel:[0,0,1] op_sel_hi:[1,1,0] neg_lo:[0,0,1] neg_hi:[0,0,1]
	v_pk_fma_f32 v[68:69], v[56:57], v[82:83], v[68:69] op_sel:[0,0,1] op_sel_hi:[0,1,0]
	v_mov_b32_e32 v85, v69
	v_pk_add_f32 v[68:69], v[30:31], v[100:101] neg_lo:[0,1] neg_hi:[0,1]
	v_pk_add_f32 v[70:71], v[84:85], v[86:87] neg_lo:[0,1] neg_hi:[0,1]
	;; [unrolled: 1-line block ×3, first 2 shown]
	v_pk_add_f32 v[94:95], v[68:69], v[70:71]
	v_pk_add_f32 v[68:69], v[100:101], v[86:87]
	;; [unrolled: 1-line block ×3, first 2 shown]
	v_pk_fma_f32 v[68:69], v[68:69], 0.5, v[64:65] op_sel_hi:[1,0,1] neg_lo:[1,0,0] neg_hi:[1,0,0]
	v_pk_add_f32 v[108:109], v[108:109], v[86:87]
	v_pk_fma_f32 v[102:103], v[98:99], s[4:5], v[68:69] op_sel:[1,0,0] op_sel_hi:[0,0,1] neg_lo:[1,0,0] neg_hi:[1,0,0]
	v_pk_fma_f32 v[104:105], v[98:99], s[4:5], v[68:69] op_sel:[1,0,0] op_sel_hi:[0,0,1]
	global_load_dwordx4 v[68:71], v[78:79], off offset:3040
	global_load_dwordx4 v[80:83], v[78:79], off offset:3024
	v_pk_add_f32 v[78:79], v[100:101], v[86:87] neg_lo:[0,1] neg_hi:[0,1]
	v_pk_add_f32 v[108:109], v[84:85], v[108:109]
	v_pk_fma_f32 v[104:105], v[78:79], s[12:13], v[104:105] op_sel:[1,0,0] op_sel_hi:[0,0,1]
	v_pk_fma_f32 v[102:103], v[78:79], s[12:13], v[102:103] op_sel:[1,0,0] op_sel_hi:[0,0,1] neg_lo:[1,0,0] neg_hi:[1,0,0]
	v_mov_b32_e32 v107, v105
	v_mov_b32_e32 v105, v103
	global_store_dwordx2 v[76:77], v[108:109], off
	v_pk_fma_f32 v[76:77], v[94:95], s[10:11], v[104:105] op_sel_hi:[1,0,1]
	global_store_dwordx2 v[88:89], v[76:77], off
	v_pk_add_f32 v[76:77], v[100:101], v[30:31] neg_lo:[0,1] neg_hi:[0,1]
	v_pk_add_f32 v[30:31], v[30:31], v[84:85]
	v_pk_add_f32 v[86:87], v[86:87], v[84:85] neg_lo:[0,1] neg_hi:[0,1]
	v_pk_fma_f32 v[30:31], v[30:31], 0.5, v[64:65] op_sel_hi:[1,0,1] neg_lo:[1,0,0] neg_hi:[1,0,0]
	v_pk_add_f32 v[76:77], v[76:77], v[86:87]
	v_pk_fma_f32 v[64:65], v[78:79], s[4:5], v[30:31] op_sel:[1,0,0] op_sel_hi:[0,0,1]
	v_pk_fma_f32 v[30:31], v[78:79], s[4:5], v[30:31] op_sel:[1,0,0] op_sel_hi:[0,0,1] neg_lo:[1,0,0] neg_hi:[1,0,0]
	v_pk_fma_f32 v[30:31], v[98:99], s[12:13], v[30:31] op_sel:[1,0,0] op_sel_hi:[0,0,1]
	v_pk_fma_f32 v[64:65], v[98:99], s[12:13], v[64:65] op_sel:[1,0,0] op_sel_hi:[0,0,1] neg_lo:[1,0,0] neg_hi:[1,0,0]
	v_mov_b32_e32 v79, v31
	v_mov_b32_e32 v31, v65
	;; [unrolled: 1-line block ×4, first 2 shown]
	v_pk_fma_f32 v[30:31], v[76:77], s[10:11], v[30:31] op_sel_hi:[1,0,1]
	v_lshl_add_u64 v[96:97], v[96:97], 3, v[2:3]
	v_pk_fma_f32 v[106:107], v[94:95], s[10:11], v[106:107] op_sel_hi:[1,0,1]
	v_pk_fma_f32 v[78:79], v[76:77], s[10:11], v[78:79] op_sel_hi:[1,0,1]
	global_store_dwordx2 v[90:91], v[30:31], off
	global_store_dwordx2 v[92:93], v[78:79], off
	;; [unrolled: 1-line block ×3, first 2 shown]
	v_mad_u64_u32 v[30:31], s[2:3], s16, v1, 0
	v_mov_b32_e32 v56, v31
	v_mad_u64_u32 v[64:65], s[2:3], s17, v1, v[56:57]
	v_add_u32_e32 v7, 0x181, v1
	v_mov_b32_e32 v31, v64
	v_mad_u64_u32 v[64:65], s[2:3], s16, v7, 0
	v_mov_b32_e32 v56, v65
	v_mad_u64_u32 v[76:77], s[2:3], s17, v7, v[56:57]
	v_add_u32_e32 v7, 0x302, v1
	v_mov_b32_e32 v65, v76
	;; [unrolled: 5-line block ×4, first 2 shown]
	v_mad_u64_u32 v[84:85], s[2:3], s16, v1, 0
	v_mov_b32_e32 v56, v85
	v_mov_b32_e32 v72, v75
	v_mad_u64_u32 v[86:87], s[2:3], s17, v1, v[56:57]
	v_mov_b32_e32 v56, v59
	v_mov_b32_e32 v58, v59
	;; [unrolled: 1-line block ×3, first 2 shown]
	v_lshl_add_u64 v[30:31], v[30:31], 3, v[2:3]
	v_lshl_add_u64 v[64:65], v[64:65], 3, v[2:3]
	v_add_u32_e32 v1, 0xa5, v118
	v_mul_hi_u32 v7, v1, s0
	v_lshrrev_b32_e32 v7, 7, v7
	v_mul_u32_u24_e32 v15, 0x181, v7
	v_sub_u32_e32 v1, v1, v15
	v_lshl_add_u64 v[76:77], v[76:77], 3, v[2:3]
	v_mad_u32_u24 v1, v7, s1, v1
	v_lshl_add_u64 v[78:79], v[78:79], 3, v[2:3]
	v_lshl_add_u64 v[84:85], v[84:85], 3, v[2:3]
	v_add_u32_e32 v7, 0x181, v1
	s_waitcnt vmcnt(5)
	v_pk_mul_f32 v[74:75], v[82:83], v[72:73] op_sel_hi:[1,0]
	s_nop 0
	v_pk_fma_f32 v[86:87], v[56:57], v[82:83], v[74:75] op_sel:[0,0,1] op_sel_hi:[1,1,0] neg_lo:[0,0,1] neg_hi:[0,0,1]
	v_pk_fma_f32 v[58:59], v[58:59], v[82:83], v[74:75] op_sel:[0,0,1] op_sel_hi:[0,1,0]
	v_mov_b32_e32 v87, v59
	v_pk_mul_f32 v[58:59], v[68:69], v[60:61] op_sel_hi:[1,0]
	v_mov_b32_e32 v56, v73
	v_pk_fma_f32 v[74:75], v[44:45], v[68:69], v[58:59] op_sel:[0,0,1] op_sel_hi:[1,1,0] neg_lo:[0,0,1] neg_hi:[0,0,1]
	v_pk_fma_f32 v[58:59], v[44:45], v[68:69], v[58:59] op_sel:[0,0,1] op_sel_hi:[0,1,0]
	v_mov_b32_e32 v75, v59
	v_pk_mul_f32 v[58:59], v[80:81], v[62:63] op_sel_hi:[1,0]
	v_mov_b32_e32 v44, v57
	;; [unrolled: 5-line block ×3, first 2 shown]
	v_pk_fma_f32 v[72:73], v[44:45], v[70:71], v[56:57] op_sel:[0,0,1] op_sel_hi:[1,1,0] neg_lo:[0,0,1] neg_hi:[0,0,1]
	v_pk_fma_f32 v[56:57], v[48:49], v[70:71], v[56:57] op_sel:[0,0,1] op_sel_hi:[0,1,0]
	v_mov_b32_e32 v73, v57
	v_pk_add_f32 v[56:57], v[82:83], v[86:87] neg_lo:[0,1] neg_hi:[0,1]
	v_pk_add_f32 v[58:59], v[72:73], v[74:75] neg_lo:[0,1] neg_hi:[0,1]
	;; [unrolled: 1-line block ×3, first 2 shown]
	v_pk_add_f32 v[80:81], v[56:57], v[58:59]
	v_pk_add_f32 v[56:57], v[86:87], v[74:75]
	;; [unrolled: 1-line block ×3, first 2 shown]
	v_pk_fma_f32 v[56:57], v[56:57], 0.5, v[52:53] op_sel_hi:[1,0,1] neg_lo:[1,0,0] neg_hi:[1,0,0]
	v_pk_add_f32 v[96:97], v[96:97], v[86:87]
	v_pk_fma_f32 v[90:91], v[88:89], s[4:5], v[56:57] op_sel:[1,0,0] op_sel_hi:[0,0,1] neg_lo:[1,0,0] neg_hi:[1,0,0]
	v_pk_fma_f32 v[92:93], v[88:89], s[4:5], v[56:57] op_sel:[1,0,0] op_sel_hi:[0,0,1]
	global_load_dwordx4 v[56:59], v[66:67], off offset:3040
	global_load_dwordx4 v[68:71], v[66:67], off offset:3024
	v_pk_add_f32 v[66:67], v[86:87], v[74:75] neg_lo:[0,1] neg_hi:[0,1]
	v_pk_add_f32 v[96:97], v[96:97], v[74:75]
	v_pk_fma_f32 v[92:93], v[66:67], s[12:13], v[92:93] op_sel:[1,0,0] op_sel_hi:[0,0,1]
	v_pk_fma_f32 v[90:91], v[66:67], s[12:13], v[90:91] op_sel:[1,0,0] op_sel_hi:[0,0,1] neg_lo:[1,0,0] neg_hi:[1,0,0]
	v_mov_b32_e32 v95, v93
	v_pk_add_f32 v[96:97], v[72:73], v[96:97]
	v_mov_b32_e32 v93, v91
	global_store_dwordx2 v[30:31], v[96:97], off
	v_pk_fma_f32 v[30:31], v[80:81], s[10:11], v[92:93] op_sel_hi:[1,0,1]
	global_store_dwordx2 v[64:65], v[30:31], off
	v_pk_add_f32 v[30:31], v[86:87], v[82:83] neg_lo:[0,1] neg_hi:[0,1]
	v_pk_add_f32 v[64:65], v[74:75], v[72:73] neg_lo:[0,1] neg_hi:[0,1]
	v_mov_b32_e32 v94, v90
	v_pk_add_f32 v[30:31], v[30:31], v[64:65]
	v_pk_add_f32 v[64:65], v[82:83], v[72:73]
	v_pk_fma_f32 v[94:95], v[80:81], s[10:11], v[94:95] op_sel_hi:[1,0,1]
	v_pk_fma_f32 v[52:53], v[64:65], 0.5, v[52:53] op_sel_hi:[1,0,1] neg_lo:[1,0,0] neg_hi:[1,0,0]
	v_mov_b32_e32 v60, v63
	v_pk_fma_f32 v[64:65], v[66:67], s[4:5], v[52:53] op_sel:[1,0,0] op_sel_hi:[0,0,1]
	v_pk_fma_f32 v[52:53], v[66:67], s[4:5], v[52:53] op_sel:[1,0,0] op_sel_hi:[0,0,1] neg_lo:[1,0,0] neg_hi:[1,0,0]
	v_pk_fma_f32 v[52:53], v[88:89], s[12:13], v[52:53] op_sel:[1,0,0] op_sel_hi:[0,0,1]
	v_pk_fma_f32 v[64:65], v[88:89], s[12:13], v[64:65] op_sel:[1,0,0] op_sel_hi:[0,0,1] neg_lo:[1,0,0] neg_hi:[1,0,0]
	v_mov_b32_e32 v66, v64
	v_mov_b32_e32 v67, v53
	;; [unrolled: 1-line block ×3, first 2 shown]
	v_pk_fma_f32 v[66:67], v[30:31], s[10:11], v[66:67] op_sel_hi:[1,0,1]
	v_pk_fma_f32 v[30:31], v[30:31], s[10:11], v[52:53] op_sel_hi:[1,0,1]
	global_store_dwordx2 v[76:77], v[30:31], off
	global_store_dwordx2 v[78:79], v[66:67], off
	;; [unrolled: 1-line block ×3, first 2 shown]
	v_mad_u64_u32 v[30:31], s[2:3], s16, v1, 0
	v_mov_b32_e32 v44, v31
	v_mad_u64_u32 v[52:53], s[2:3], s17, v1, v[44:45]
	v_mov_b32_e32 v31, v52
	v_mad_u64_u32 v[52:53], s[2:3], s16, v7, 0
	v_mov_b32_e32 v44, v53
	v_mad_u64_u32 v[64:65], s[2:3], s17, v7, v[44:45]
	v_add_u32_e32 v7, 0x302, v1
	v_mov_b32_e32 v53, v64
	v_mad_u64_u32 v[64:65], s[2:3], s16, v7, 0
	v_mov_b32_e32 v44, v65
	v_mad_u64_u32 v[66:67], s[2:3], s17, v7, v[44:45]
	v_add_u32_e32 v7, 0x483, v1
	v_mov_b32_e32 v65, v66
	v_mad_u64_u32 v[66:67], s[2:3], s16, v7, 0
	v_mov_b32_e32 v44, v67
	;; [unrolled: 5-line block ×3, first 2 shown]
	v_mad_u64_u32 v[74:75], s[2:3], s17, v1, v[44:45]
	v_mov_b32_e32 v44, v49
	v_mov_b32_e32 v48, v49
	;; [unrolled: 1-line block ×3, first 2 shown]
	v_lshl_add_u64 v[30:31], v[30:31], 3, v[2:3]
	v_lshl_add_u64 v[52:53], v[52:53], 3, v[2:3]
	v_add_u32_e32 v1, 0xdc, v118
	v_mul_hi_u32 v7, v1, s0
	v_lshrrev_b32_e32 v7, 7, v7
	v_mul_u32_u24_e32 v15, 0x181, v7
	v_sub_u32_e32 v1, v1, v15
	v_lshl_add_u64 v[64:65], v[64:65], 3, v[2:3]
	v_mad_u32_u24 v1, v7, s1, v1
	v_lshl_add_u64 v[66:67], v[66:67], 3, v[2:3]
	v_lshl_add_u64 v[72:73], v[72:73], 3, v[2:3]
	v_add_u32_e32 v7, 0x181, v1
	s_waitcnt vmcnt(5)
	v_pk_mul_f32 v[62:63], v[68:69], v[60:61] op_sel_hi:[1,0]
	s_nop 0
	v_pk_fma_f32 v[74:75], v[44:45], v[68:69], v[62:63] op_sel:[0,0,1] op_sel_hi:[1,1,0] neg_lo:[0,0,1] neg_hi:[0,0,1]
	v_pk_fma_f32 v[48:49], v[48:49], v[68:69], v[62:63] op_sel:[0,0,1] op_sel_hi:[0,1,0]
	v_mov_b32_e32 v75, v49
	v_pk_mul_f32 v[48:49], v[70:71], v[50:51] op_sel_hi:[1,0]
	v_mov_b32_e32 v44, v61
	v_pk_fma_f32 v[68:69], v[40:41], v[70:71], v[48:49] op_sel:[0,0,1] op_sel_hi:[1,1,0] neg_lo:[0,0,1] neg_hi:[0,0,1]
	v_pk_fma_f32 v[48:49], v[40:41], v[70:71], v[48:49] op_sel:[0,0,1] op_sel_hi:[0,1,0]
	v_mov_b32_e32 v69, v49
	v_pk_mul_f32 v[48:49], v[58:59], v[46:47] op_sel_hi:[1,0]
	v_mov_b32_e32 v40, v45
	v_pk_fma_f32 v[70:71], v[36:37], v[58:59], v[48:49] op_sel:[0,0,1] op_sel_hi:[1,1,0] neg_lo:[0,0,1] neg_hi:[0,0,1]
	v_pk_fma_f32 v[48:49], v[36:37], v[58:59], v[48:49] op_sel:[0,0,1] op_sel_hi:[0,1,0]
	v_mov_b32_e32 v36, v45
	v_pk_mul_f32 v[44:45], v[56:57], v[44:45] op_sel_hi:[1,0]
	v_mov_b32_e32 v71, v49
	v_pk_fma_f32 v[48:49], v[36:37], v[56:57], v[44:45] op_sel:[0,0,1] op_sel_hi:[1,1,0] neg_lo:[0,0,1] neg_hi:[0,0,1]
	v_pk_fma_f32 v[44:45], v[40:41], v[56:57], v[44:45] op_sel:[0,0,1] op_sel_hi:[0,1,0]
	v_mov_b32_e32 v49, v45
	v_pk_add_f32 v[56:57], v[68:69], v[48:49]
	v_pk_add_f32 v[58:59], v[70:71], v[48:49] neg_lo:[0,1] neg_hi:[0,1]
	v_pk_fma_f32 v[78:79], v[56:57], 0.5, v[42:43] op_sel_hi:[1,0,1] neg_lo:[1,0,0] neg_hi:[1,0,0]
	v_pk_add_f32 v[56:57], v[74:75], v[68:69] neg_lo:[0,1] neg_hi:[0,1]
	v_pk_add_f32 v[44:45], v[74:75], v[70:71] neg_lo:[0,1] neg_hi:[0,1]
	v_pk_add_f32 v[80:81], v[56:57], v[58:59]
	global_load_dwordx4 v[56:59], v[54:55], off offset:3040
	global_load_dwordx4 v[60:63], v[54:55], off offset:3024
	v_pk_add_f32 v[84:85], v[42:43], v[74:75]
	v_pk_add_f32 v[76:77], v[68:69], v[48:49] neg_lo:[0,1] neg_hi:[0,1]
	v_pk_fma_f32 v[82:83], v[44:45], s[4:5], v[78:79] op_sel:[1,0,0] op_sel_hi:[0,0,1] neg_lo:[1,0,0] neg_hi:[1,0,0]
	v_pk_fma_f32 v[54:55], v[44:45], s[4:5], v[78:79] op_sel:[1,0,0] op_sel_hi:[0,0,1]
	v_pk_add_f32 v[84:85], v[68:69], v[84:85]
	v_pk_fma_f32 v[54:55], v[76:77], s[12:13], v[54:55] op_sel:[1,0,0] op_sel_hi:[0,0,1]
	v_pk_fma_f32 v[78:79], v[76:77], s[12:13], v[82:83] op_sel:[1,0,0] op_sel_hi:[0,0,1] neg_lo:[1,0,0] neg_hi:[1,0,0]
	v_pk_add_f32 v[84:85], v[84:85], v[48:49]
	v_mov_b32_e32 v83, v55
	v_pk_add_f32 v[84:85], v[84:85], v[70:71]
	v_mov_b32_e32 v55, v79
	global_store_dwordx2 v[30:31], v[84:85], off
	v_pk_fma_f32 v[30:31], v[80:81], s[10:11], v[54:55] op_sel_hi:[1,0,1]
	global_store_dwordx2 v[52:53], v[30:31], off
	v_pk_add_f32 v[30:31], v[68:69], v[74:75] neg_lo:[0,1] neg_hi:[0,1]
	v_pk_add_f32 v[48:49], v[48:49], v[70:71] neg_lo:[0,1] neg_hi:[0,1]
	v_mov_b32_e32 v82, v78
	v_pk_add_f32 v[30:31], v[30:31], v[48:49]
	v_pk_add_f32 v[48:49], v[74:75], v[70:71]
	v_pk_fma_f32 v[82:83], v[80:81], s[10:11], v[82:83] op_sel_hi:[1,0,1]
	v_pk_fma_f32 v[42:43], v[48:49], 0.5, v[42:43] op_sel_hi:[1,0,1] neg_lo:[1,0,0] neg_hi:[1,0,0]
	v_mov_b32_e32 v40, v41
	v_pk_fma_f32 v[48:49], v[76:77], s[4:5], v[42:43] op_sel:[1,0,0] op_sel_hi:[0,0,1]
	v_pk_fma_f32 v[42:43], v[76:77], s[4:5], v[42:43] op_sel:[1,0,0] op_sel_hi:[0,0,1] neg_lo:[1,0,0] neg_hi:[1,0,0]
	v_pk_fma_f32 v[42:43], v[44:45], s[12:13], v[42:43] op_sel:[1,0,0] op_sel_hi:[0,0,1]
	v_pk_fma_f32 v[44:45], v[44:45], s[12:13], v[48:49] op_sel:[1,0,0] op_sel_hi:[0,0,1] neg_lo:[1,0,0] neg_hi:[1,0,0]
	v_mov_b32_e32 v48, v44
	v_mov_b32_e32 v49, v43
	;; [unrolled: 1-line block ×3, first 2 shown]
	v_pk_fma_f32 v[48:49], v[30:31], s[10:11], v[48:49] op_sel_hi:[1,0,1]
	v_pk_fma_f32 v[30:31], v[30:31], s[10:11], v[42:43] op_sel_hi:[1,0,1]
	global_store_dwordx2 v[64:65], v[30:31], off
	global_store_dwordx2 v[66:67], v[48:49], off
	;; [unrolled: 1-line block ×3, first 2 shown]
	v_mad_u64_u32 v[30:31], s[2:3], s16, v1, 0
	v_mov_b32_e32 v36, v31
	v_mad_u64_u32 v[42:43], s[2:3], s17, v1, v[36:37]
	v_mov_b32_e32 v31, v42
	;; [unrolled: 2-line block ×4, first 2 shown]
	v_add_u32_e32 v7, 0x302, v1
	v_lshl_add_u64 v[48:49], v[42:43], 3, v[2:3]
	v_mad_u64_u32 v[42:43], s[2:3], s16, v7, 0
	v_mov_b32_e32 v36, v43
	v_mad_u64_u32 v[44:45], s[2:3], s17, v7, v[36:37]
	v_mov_b32_e32 v43, v44
	v_add_u32_e32 v7, 0x483, v1
	v_lshl_add_u64 v[52:53], v[42:43], 3, v[2:3]
	v_mad_u64_u32 v[42:43], s[2:3], s16, v7, 0
	v_mov_b32_e32 v36, v43
	v_mad_u64_u32 v[44:45], s[2:3], s17, v7, v[36:37]
	v_mov_b32_e32 v43, v44
	;; [unrolled: 6-line block ×3, first 2 shown]
	v_lshl_add_u64 v[64:65], v[42:43], 3, v[2:3]
	v_mov_b32_e32 v42, v51
	v_mov_b32_e32 v36, v41
	v_lshl_add_u64 v[30:31], v[30:31], 3, v[2:3]
	v_add_u32_e32 v1, 0x113, v118
	v_mul_hi_u32 v7, v1, s0
	v_lshrrev_b32_e32 v7, 7, v7
	v_mul_u32_u24_e32 v15, 0x181, v7
	v_sub_u32_e32 v1, v1, v15
	v_mad_u32_u24 v1, v7, s1, v1
	v_add_u32_e32 v7, 0x181, v1
	s_waitcnt vmcnt(5)
	v_pk_mul_f32 v[42:43], v[62:63], v[42:43] op_sel_hi:[1,0]
	s_nop 0
	v_pk_fma_f32 v[50:51], v[36:37], v[62:63], v[42:43] op_sel:[0,0,1] op_sel_hi:[1,1,0] neg_lo:[0,0,1] neg_hi:[0,0,1]
	v_pk_fma_f32 v[40:41], v[40:41], v[62:63], v[42:43] op_sel:[0,0,1] op_sel_hi:[0,1,0]
	v_mov_b32_e32 v51, v41
	v_pk_mul_f32 v[40:41], v[56:57], v[38:39] op_sel_hi:[1,0]
	s_nop 0
	v_pk_fma_f32 v[62:63], v[26:27], v[56:57], v[40:41] op_sel:[0,0,1] op_sel_hi:[1,1,0] neg_lo:[0,0,1] neg_hi:[0,0,1]
	v_pk_fma_f32 v[40:41], v[26:27], v[56:57], v[40:41] op_sel:[0,0,1] op_sel_hi:[0,1,0]
	v_mov_b32_e32 v63, v41
	v_pk_mul_f32 v[40:41], v[60:61], v[32:33] op_sel_hi:[1,0]
	v_mov_b32_e32 v32, v47
	v_pk_fma_f32 v[56:57], v[24:25], v[60:61], v[40:41] op_sel:[0,0,1] op_sel_hi:[1,1,0] neg_lo:[0,0,1] neg_hi:[0,0,1]
	v_pk_fma_f32 v[40:41], v[24:25], v[60:61], v[40:41] op_sel:[0,0,1] op_sel_hi:[0,1,0]
	v_mov_b32_e32 v24, v37
	v_mov_b32_e32 v26, v37
	v_pk_mul_f32 v[36:37], v[58:59], v[32:33] op_sel_hi:[1,0]
	v_mov_b32_e32 v57, v41
	v_pk_fma_f32 v[60:61], v[24:25], v[58:59], v[36:37] op_sel:[0,0,1] op_sel_hi:[1,1,0] neg_lo:[0,0,1] neg_hi:[0,0,1]
	v_pk_fma_f32 v[36:37], v[26:27], v[58:59], v[36:37] op_sel:[0,0,1] op_sel_hi:[0,1,0]
	v_mov_b32_e32 v61, v37
	v_pk_add_f32 v[36:37], v[56:57], v[50:51] neg_lo:[0,1] neg_hi:[0,1]
	v_pk_add_f32 v[40:41], v[60:61], v[62:63] neg_lo:[0,1] neg_hi:[0,1]
	v_pk_add_f32 v[72:73], v[28:29], v[56:57]
	v_pk_add_f32 v[36:37], v[36:37], v[40:41]
	;; [unrolled: 1-line block ×3, first 2 shown]
	v_pk_add_f32 v[68:69], v[50:51], v[62:63] neg_lo:[0,1] neg_hi:[0,1]
	v_pk_fma_f32 v[58:59], v[40:41], 0.5, v[28:29] op_sel_hi:[1,0,1] neg_lo:[1,0,0] neg_hi:[1,0,0]
	global_load_dwordx4 v[40:43], v[34:35], off offset:3040
	global_load_dwordx4 v[44:47], v[34:35], off offset:3024
	v_pk_add_f32 v[34:35], v[56:57], v[60:61] neg_lo:[0,1] neg_hi:[0,1]
	v_pk_add_f32 v[72:73], v[72:73], v[50:51]
	v_pk_fma_f32 v[66:67], v[34:35], s[4:5], v[58:59] op_sel:[1,0,0] op_sel_hi:[0,0,1] neg_lo:[1,0,0] neg_hi:[1,0,0]
	v_pk_fma_f32 v[58:59], v[34:35], s[4:5], v[58:59] op_sel:[1,0,0] op_sel_hi:[0,0,1]
	v_pk_fma_f32 v[58:59], v[68:69], s[12:13], v[58:59] op_sel:[1,0,0] op_sel_hi:[0,0,1]
	v_pk_fma_f32 v[66:67], v[68:69], s[12:13], v[66:67] op_sel:[1,0,0] op_sel_hi:[0,0,1] neg_lo:[1,0,0] neg_hi:[1,0,0]
	v_pk_add_f32 v[72:73], v[72:73], v[62:63]
	v_mov_b32_e32 v71, v59
	v_pk_add_f32 v[72:73], v[60:61], v[72:73]
	v_mov_b32_e32 v59, v67
	v_mov_b32_e32 v70, v66
	global_store_dwordx2 v[30:31], v[72:73], off
	v_pk_fma_f32 v[30:31], v[36:37], s[10:11], v[58:59] op_sel_hi:[1,0,1]
	v_pk_fma_f32 v[70:71], v[36:37], s[10:11], v[70:71] op_sel_hi:[1,0,1]
	global_store_dwordx2 v[48:49], v[30:31], off
	v_pk_add_f32 v[30:31], v[50:51], v[56:57] neg_lo:[0,1] neg_hi:[0,1]
	v_pk_add_f32 v[36:37], v[62:63], v[60:61] neg_lo:[0,1] neg_hi:[0,1]
	s_nop 0
	v_pk_add_f32 v[30:31], v[30:31], v[36:37]
	v_pk_add_f32 v[36:37], v[56:57], v[60:61]
	s_nop 0
	v_pk_fma_f32 v[28:29], v[36:37], 0.5, v[28:29] op_sel_hi:[1,0,1] neg_lo:[1,0,0] neg_hi:[1,0,0]
	s_nop 0
	v_pk_fma_f32 v[36:37], v[68:69], s[4:5], v[28:29] op_sel:[1,0,0] op_sel_hi:[0,0,1]
	v_pk_fma_f32 v[28:29], v[68:69], s[4:5], v[28:29] op_sel:[1,0,0] op_sel_hi:[0,0,1] neg_lo:[1,0,0] neg_hi:[1,0,0]
	v_pk_fma_f32 v[28:29], v[34:35], s[12:13], v[28:29] op_sel:[1,0,0] op_sel_hi:[0,0,1]
	v_pk_fma_f32 v[34:35], v[34:35], s[12:13], v[36:37] op_sel:[1,0,0] op_sel_hi:[0,0,1] neg_lo:[1,0,0] neg_hi:[1,0,0]
	v_mov_b32_e32 v37, v29
	v_mov_b32_e32 v29, v35
	;; [unrolled: 1-line block ×3, first 2 shown]
	v_pk_fma_f32 v[28:29], v[30:31], s[10:11], v[28:29] op_sel_hi:[1,0,1]
	v_pk_fma_f32 v[36:37], v[30:31], s[10:11], v[36:37] op_sel_hi:[1,0,1]
	global_store_dwordx2 v[52:53], v[28:29], off
	global_store_dwordx2 v[54:55], v[36:37], off
	;; [unrolled: 1-line block ×3, first 2 shown]
	v_mad_u64_u32 v[28:29], s[2:3], s16, v1, 0
	v_mov_b32_e32 v24, v29
	v_mad_u64_u32 v[30:31], s[2:3], s17, v1, v[24:25]
	v_mov_b32_e32 v29, v30
	v_lshl_add_u64 v[34:35], v[28:29], 3, v[2:3]
	v_mad_u64_u32 v[28:29], s[2:3], s16, v7, 0
	v_mov_b32_e32 v24, v29
	v_mad_u64_u32 v[30:31], s[2:3], s17, v7, v[24:25]
	v_mov_b32_e32 v29, v30
	v_add_u32_e32 v7, 0x302, v1
	v_lshl_add_u64 v[36:37], v[28:29], 3, v[2:3]
	v_mad_u64_u32 v[28:29], s[2:3], s16, v7, 0
	v_mov_b32_e32 v24, v29
	v_mad_u64_u32 v[30:31], s[2:3], s17, v7, v[24:25]
	v_mov_b32_e32 v29, v30
	v_add_u32_e32 v7, 0x483, v1
	;; [unrolled: 6-line block ×3, first 2 shown]
	v_lshl_add_u64 v[50:51], v[28:29], 3, v[2:3]
	v_mad_u64_u32 v[28:29], s[2:3], s16, v1, 0
	v_mov_b32_e32 v24, v29
	v_mad_u64_u32 v[30:31], s[2:3], s17, v1, v[24:25]
	v_mov_b32_e32 v29, v30
	v_lshl_add_u64 v[52:53], v[28:29], 3, v[2:3]
	v_mov_b32_e32 v24, v39
	v_add_u32_e32 v1, 0x14a, v118
	s_waitcnt vmcnt(5)
	v_pk_mul_f32 v[28:29], v[46:47], v[20:21] op_sel_hi:[1,0]
	s_nop 0
	v_pk_fma_f32 v[54:55], v[12:13], v[46:47], v[28:29] op_sel:[0,0,1] op_sel_hi:[1,1,0] neg_lo:[0,0,1] neg_hi:[0,0,1]
	v_pk_fma_f32 v[28:29], v[12:13], v[46:47], v[28:29] op_sel:[0,0,1] op_sel_hi:[0,1,0]
	v_mov_b32_e32 v12, v27
	v_mov_b32_e32 v20, v27
	v_pk_mul_f32 v[26:27], v[40:41], v[24:25] op_sel_hi:[1,0]
	v_mov_b32_e32 v24, v33
	v_pk_fma_f32 v[38:39], v[12:13], v[40:41], v[26:27] op_sel:[0,0,1] op_sel_hi:[1,1,0] neg_lo:[0,0,1] neg_hi:[0,0,1]
	v_pk_fma_f32 v[26:27], v[20:21], v[40:41], v[26:27] op_sel:[0,0,1] op_sel_hi:[0,1,0]
	v_mov_b32_e32 v12, v25
	v_mov_b32_e32 v20, v25
	v_pk_mul_f32 v[24:25], v[44:45], v[24:25] op_sel_hi:[1,0]
	v_mov_b32_e32 v55, v29
	v_pk_fma_f32 v[32:33], v[12:13], v[44:45], v[24:25] op_sel:[0,0,1] op_sel_hi:[1,1,0] neg_lo:[0,0,1] neg_hi:[0,0,1]
	v_pk_fma_f32 v[24:25], v[20:21], v[44:45], v[24:25] op_sel:[0,0,1] op_sel_hi:[0,1,0]
	v_mov_b32_e32 v33, v25
	v_pk_mul_f32 v[24:25], v[42:43], v[16:17] op_sel_hi:[1,0]
	v_mov_b32_e32 v39, v27
	v_pk_fma_f32 v[40:41], v[10:11], v[42:43], v[24:25] op_sel:[0,0,1] op_sel_hi:[1,1,0] neg_lo:[0,0,1] neg_hi:[0,0,1]
	v_pk_fma_f32 v[24:25], v[10:11], v[42:43], v[24:25] op_sel:[0,0,1] op_sel_hi:[0,1,0]
	v_mov_b32_e32 v41, v25
	v_pk_add_f32 v[24:25], v[32:33], v[54:55] neg_lo:[0,1] neg_hi:[0,1]
	v_pk_add_f32 v[26:27], v[40:41], v[38:39] neg_lo:[0,1] neg_hi:[0,1]
	v_mov_b32_e32 v44, v8
	v_pk_add_f32 v[42:43], v[24:25], v[26:27]
	v_pk_add_f32 v[24:25], v[54:55], v[38:39]
	v_mov_b32_e32 v45, v4
	v_pk_fma_f32 v[24:25], v[24:25], 0.5, v[44:45] op_sel_hi:[1,0,1] neg_lo:[1,0,0] neg_hi:[1,0,0]
	v_pk_add_f32 v[46:47], v[32:33], v[40:41] neg_lo:[0,1] neg_hi:[0,1]
	v_pk_add_f32 v[62:63], v[44:45], v[32:33]
	v_pk_fma_f32 v[56:57], v[46:47], s[4:5], v[24:25] op_sel:[1,0,0] op_sel_hi:[0,0,1] neg_lo:[1,0,0] neg_hi:[1,0,0]
	v_pk_fma_f32 v[58:59], v[46:47], s[4:5], v[24:25] op_sel:[1,0,0] op_sel_hi:[0,0,1]
	global_load_dwordx4 v[24:27], v[22:23], off offset:3040
	global_load_dwordx4 v[28:31], v[22:23], off offset:3024
	v_pk_add_f32 v[22:23], v[54:55], v[38:39] neg_lo:[0,1] neg_hi:[0,1]
	v_pk_add_f32 v[62:63], v[62:63], v[54:55]
	v_pk_fma_f32 v[58:59], v[22:23], s[12:13], v[58:59] op_sel:[1,0,0] op_sel_hi:[0,0,1]
	v_pk_fma_f32 v[56:57], v[22:23], s[12:13], v[56:57] op_sel:[1,0,0] op_sel_hi:[0,0,1] neg_lo:[1,0,0] neg_hi:[1,0,0]
	v_pk_add_f32 v[62:63], v[62:63], v[38:39]
	v_mov_b32_e32 v61, v59
	v_pk_add_f32 v[62:63], v[40:41], v[62:63]
	v_mov_b32_e32 v59, v57
	global_store_dwordx2 v[34:35], v[62:63], off
	v_pk_fma_f32 v[34:35], v[42:43], s[10:11], v[58:59] op_sel_hi:[1,0,1]
	global_store_dwordx2 v[36:37], v[34:35], off
	v_pk_add_f32 v[34:35], v[54:55], v[32:33] neg_lo:[0,1] neg_hi:[0,1]
	v_pk_add_f32 v[32:33], v[32:33], v[40:41]
	v_pk_add_f32 v[36:37], v[38:39], v[40:41] neg_lo:[0,1] neg_hi:[0,1]
	v_pk_fma_f32 v[32:33], v[32:33], 0.5, v[44:45] op_sel_hi:[1,0,1] neg_lo:[1,0,0] neg_hi:[1,0,0]
	v_mul_hi_u32 v4, v1, s0
	v_pk_add_f32 v[34:35], v[34:35], v[36:37]
	v_pk_fma_f32 v[36:37], v[22:23], s[4:5], v[32:33] op_sel:[1,0,0] op_sel_hi:[0,0,1]
	v_pk_fma_f32 v[22:23], v[22:23], s[4:5], v[32:33] op_sel:[1,0,0] op_sel_hi:[0,0,1] neg_lo:[1,0,0] neg_hi:[1,0,0]
	v_lshrrev_b32_e32 v4, 7, v4
	v_pk_fma_f32 v[22:23], v[46:47], s[12:13], v[22:23] op_sel:[1,0,0] op_sel_hi:[0,0,1]
	v_pk_fma_f32 v[32:33], v[46:47], s[12:13], v[36:37] op_sel:[1,0,0] op_sel_hi:[0,0,1] neg_lo:[1,0,0] neg_hi:[1,0,0]
	v_mul_u32_u24_e32 v7, 0x181, v4
	v_mov_b32_e32 v37, v23
	v_mov_b32_e32 v23, v33
	v_sub_u32_e32 v1, v1, v7
	v_mov_b32_e32 v60, v56
	v_mov_b32_e32 v36, v32
	v_pk_fma_f32 v[22:23], v[34:35], s[10:11], v[22:23] op_sel_hi:[1,0,1]
	v_mad_u32_u24 v1, v4, s1, v1
	v_pk_fma_f32 v[60:61], v[42:43], s[10:11], v[60:61] op_sel_hi:[1,0,1]
	v_pk_fma_f32 v[36:37], v[34:35], s[10:11], v[36:37] op_sel_hi:[1,0,1]
	global_store_dwordx2 v[48:49], v[22:23], off
	global_store_dwordx2 v[50:51], v[36:37], off
	;; [unrolled: 1-line block ×3, first 2 shown]
	v_mad_u64_u32 v[22:23], s[0:1], s16, v1, 0
	v_mov_b32_e32 v4, v23
	v_mad_u64_u32 v[32:33], s[0:1], s17, v1, v[4:5]
	v_add_u32_e32 v7, 0x181, v1
	v_mov_b32_e32 v23, v32
	v_mad_u64_u32 v[32:33], s[0:1], s16, v7, 0
	v_mov_b32_e32 v4, v33
	v_mad_u64_u32 v[34:35], s[0:1], s17, v7, v[4:5]
	v_add_u32_e32 v7, 0x302, v1
	v_mov_b32_e32 v33, v34
	;; [unrolled: 5-line block ×4, first 2 shown]
	v_mad_u64_u32 v[38:39], s[0:1], s16, v1, 0
	v_mov_b32_e32 v4, v39
	v_mov_b32_e32 v10, v21
	v_mad_u64_u32 v[40:41], s[0:1], s17, v1, v[4:5]
	v_mov_b32_e32 v4, v13
	v_mov_b32_e32 v8, v13
	v_lshl_add_u64 v[22:23], v[22:23], 3, v[2:3]
	v_lshl_add_u64 v[32:33], v[32:33], 3, v[2:3]
	;; [unrolled: 1-line block ×3, first 2 shown]
	v_mov_b32_e32 v39, v40
	v_lshl_add_u64 v[36:37], v[36:37], 3, v[2:3]
	v_lshl_add_u64 v[2:3], v[38:39], 3, v[2:3]
	s_waitcnt vmcnt(5)
	v_pk_mul_f32 v[12:13], v[30:31], v[10:11] op_sel_hi:[1,0]
	s_nop 0
	v_pk_fma_f32 v[20:21], v[4:5], v[30:31], v[12:13] op_sel:[0,0,1] op_sel_hi:[1,1,0] neg_lo:[0,0,1] neg_hi:[0,0,1]
	v_pk_fma_f32 v[12:13], v[8:9], v[30:31], v[12:13] op_sel:[0,0,1] op_sel_hi:[0,1,0]
	v_mov_b32_e32 v21, v13
	v_pk_mul_f32 v[12:13], v[24:25], v[18:19] op_sel_hi:[1,0]
	v_mov_b32_e32 v4, v11
	v_pk_fma_f32 v[18:19], v[6:7], v[24:25], v[12:13] op_sel:[0,0,1] op_sel_hi:[1,1,0] neg_lo:[0,0,1] neg_hi:[0,0,1]
	v_pk_fma_f32 v[6:7], v[6:7], v[24:25], v[12:13] op_sel:[0,0,1] op_sel_hi:[0,1,0]
	v_mov_b32_e32 v19, v7
	v_pk_mul_f32 v[6:7], v[28:29], v[14:15] op_sel_hi:[1,0]
	s_nop 0
	v_pk_fma_f32 v[12:13], v[0:1], v[28:29], v[6:7] op_sel:[0,0,1] op_sel_hi:[1,1,0] neg_lo:[0,0,1] neg_hi:[0,0,1]
	v_pk_fma_f32 v[0:1], v[0:1], v[28:29], v[6:7] op_sel:[0,0,1] op_sel_hi:[0,1,0]
	v_mov_b32_e32 v6, v17
	v_mov_b32_e32 v0, v11
	v_pk_mul_f32 v[6:7], v[26:27], v[6:7] op_sel_hi:[1,0]
	v_mov_b32_e32 v13, v1
	v_pk_fma_f32 v[0:1], v[0:1], v[26:27], v[6:7] op_sel:[0,0,1] op_sel_hi:[1,1,0] neg_lo:[0,0,1] neg_hi:[0,0,1]
	v_pk_fma_f32 v[6:7], v[4:5], v[26:27], v[6:7] op_sel:[0,0,1] op_sel_hi:[0,1,0]
	v_mov_b32_e32 v1, v7
	v_pk_add_f32 v[6:7], v[12:13], v[20:21] neg_lo:[0,1] neg_hi:[0,1]
	v_pk_add_f32 v[10:11], v[0:1], v[18:19] neg_lo:[0,1] neg_hi:[0,1]
	v_mov_b32_e32 v4, v9
	v_pk_add_f32 v[6:7], v[6:7], v[10:11]
	v_pk_add_f32 v[10:11], v[20:21], v[18:19]
	v_pk_add_f32 v[16:17], v[20:21], v[18:19] neg_lo:[0,1] neg_hi:[0,1]
	v_pk_fma_f32 v[8:9], v[10:11], 0.5, v[4:5] op_sel_hi:[1,0,1] neg_lo:[1,0,0] neg_hi:[1,0,0]
	v_pk_add_f32 v[10:11], v[12:13], v[0:1] neg_lo:[0,1] neg_hi:[0,1]
	v_pk_add_f32 v[26:27], v[4:5], v[12:13]
	v_pk_fma_f32 v[14:15], v[10:11], s[4:5], v[8:9] op_sel:[1,0,0] op_sel_hi:[0,0,1] neg_lo:[1,0,0] neg_hi:[1,0,0]
	v_pk_fma_f32 v[8:9], v[10:11], s[4:5], v[8:9] op_sel:[1,0,0] op_sel_hi:[0,0,1]
	v_pk_fma_f32 v[8:9], v[16:17], s[12:13], v[8:9] op_sel:[1,0,0] op_sel_hi:[0,0,1]
	v_pk_fma_f32 v[14:15], v[16:17], s[12:13], v[14:15] op_sel:[1,0,0] op_sel_hi:[0,0,1] neg_lo:[1,0,0] neg_hi:[1,0,0]
	v_pk_add_f32 v[26:27], v[26:27], v[20:21]
	v_mov_b32_e32 v24, v14
	v_mov_b32_e32 v25, v9
	v_pk_add_f32 v[26:27], v[26:27], v[18:19]
	v_mov_b32_e32 v9, v15
	v_pk_fma_f32 v[24:25], v[6:7], s[10:11], v[24:25] op_sel_hi:[1,0,1]
	v_pk_add_f32 v[26:27], v[0:1], v[26:27]
	v_pk_fma_f32 v[6:7], v[6:7], s[10:11], v[8:9] op_sel_hi:[1,0,1]
	v_pk_add_f32 v[8:9], v[18:19], v[0:1] neg_lo:[0,1] neg_hi:[0,1]
	v_pk_add_f32 v[0:1], v[12:13], v[0:1]
	global_store_dwordx2 v[22:23], v[26:27], off
	v_pk_fma_f32 v[0:1], v[0:1], 0.5, v[4:5] op_sel_hi:[1,0,1] neg_lo:[1,0,0] neg_hi:[1,0,0]
	global_store_dwordx2 v[32:33], v[6:7], off
	v_pk_fma_f32 v[4:5], v[16:17], s[4:5], v[0:1] op_sel:[1,0,0] op_sel_hi:[0,0,1]
	v_pk_fma_f32 v[0:1], v[16:17], s[4:5], v[0:1] op_sel:[1,0,0] op_sel_hi:[0,0,1] neg_lo:[1,0,0] neg_hi:[1,0,0]
	v_pk_add_f32 v[6:7], v[20:21], v[12:13] neg_lo:[0,1] neg_hi:[0,1]
	v_pk_fma_f32 v[0:1], v[10:11], s[12:13], v[0:1] op_sel:[1,0,0] op_sel_hi:[0,0,1]
	v_pk_fma_f32 v[4:5], v[10:11], s[12:13], v[4:5] op_sel:[1,0,0] op_sel_hi:[0,0,1] neg_lo:[1,0,0] neg_hi:[1,0,0]
	v_pk_add_f32 v[6:7], v[6:7], v[8:9]
	v_mov_b32_e32 v9, v1
	v_mov_b32_e32 v1, v5
	;; [unrolled: 1-line block ×3, first 2 shown]
	v_pk_fma_f32 v[0:1], v[6:7], s[10:11], v[0:1] op_sel_hi:[1,0,1]
	v_pk_fma_f32 v[8:9], v[6:7], s[10:11], v[8:9] op_sel_hi:[1,0,1]
	global_store_dwordx2 v[34:35], v[0:1], off
	global_store_dwordx2 v[36:37], v[8:9], off
	;; [unrolled: 1-line block ×3, first 2 shown]
.LBB0_23:
	s_endpgm
	.section	.rodata,"a",@progbits
	.p2align	6, 0x0
	.amdhsa_kernel fft_rtc_fwd_len1925_factors_7_11_5_5_wgs_55_tpt_55_halfLds_sp_op_CI_CI_sbrr_dirReg
		.amdhsa_group_segment_fixed_size 0
		.amdhsa_private_segment_fixed_size 0
		.amdhsa_kernarg_size 104
		.amdhsa_user_sgpr_count 2
		.amdhsa_user_sgpr_dispatch_ptr 0
		.amdhsa_user_sgpr_queue_ptr 0
		.amdhsa_user_sgpr_kernarg_segment_ptr 1
		.amdhsa_user_sgpr_dispatch_id 0
		.amdhsa_user_sgpr_kernarg_preload_length 0
		.amdhsa_user_sgpr_kernarg_preload_offset 0
		.amdhsa_user_sgpr_private_segment_size 0
		.amdhsa_uses_dynamic_stack 0
		.amdhsa_enable_private_segment 0
		.amdhsa_system_sgpr_workgroup_id_x 1
		.amdhsa_system_sgpr_workgroup_id_y 0
		.amdhsa_system_sgpr_workgroup_id_z 0
		.amdhsa_system_sgpr_workgroup_info 0
		.amdhsa_system_vgpr_workitem_id 0
		.amdhsa_next_free_vgpr 163
		.amdhsa_next_free_sgpr 32
		.amdhsa_accum_offset 164
		.amdhsa_reserve_vcc 1
		.amdhsa_float_round_mode_32 0
		.amdhsa_float_round_mode_16_64 0
		.amdhsa_float_denorm_mode_32 3
		.amdhsa_float_denorm_mode_16_64 3
		.amdhsa_dx10_clamp 1
		.amdhsa_ieee_mode 1
		.amdhsa_fp16_overflow 0
		.amdhsa_tg_split 0
		.amdhsa_exception_fp_ieee_invalid_op 0
		.amdhsa_exception_fp_denorm_src 0
		.amdhsa_exception_fp_ieee_div_zero 0
		.amdhsa_exception_fp_ieee_overflow 0
		.amdhsa_exception_fp_ieee_underflow 0
		.amdhsa_exception_fp_ieee_inexact 0
		.amdhsa_exception_int_div_zero 0
	.end_amdhsa_kernel
	.text
.Lfunc_end0:
	.size	fft_rtc_fwd_len1925_factors_7_11_5_5_wgs_55_tpt_55_halfLds_sp_op_CI_CI_sbrr_dirReg, .Lfunc_end0-fft_rtc_fwd_len1925_factors_7_11_5_5_wgs_55_tpt_55_halfLds_sp_op_CI_CI_sbrr_dirReg
                                        ; -- End function
	.section	.AMDGPU.csdata,"",@progbits
; Kernel info:
; codeLenInByte = 25232
; NumSgprs: 38
; NumVgprs: 163
; NumAgprs: 0
; TotalNumVgprs: 163
; ScratchSize: 0
; MemoryBound: 0
; FloatMode: 240
; IeeeMode: 1
; LDSByteSize: 0 bytes/workgroup (compile time only)
; SGPRBlocks: 4
; VGPRBlocks: 20
; NumSGPRsForWavesPerEU: 38
; NumVGPRsForWavesPerEU: 163
; AccumOffset: 164
; Occupancy: 3
; WaveLimiterHint : 1
; COMPUTE_PGM_RSRC2:SCRATCH_EN: 0
; COMPUTE_PGM_RSRC2:USER_SGPR: 2
; COMPUTE_PGM_RSRC2:TRAP_HANDLER: 0
; COMPUTE_PGM_RSRC2:TGID_X_EN: 1
; COMPUTE_PGM_RSRC2:TGID_Y_EN: 0
; COMPUTE_PGM_RSRC2:TGID_Z_EN: 0
; COMPUTE_PGM_RSRC2:TIDIG_COMP_CNT: 0
; COMPUTE_PGM_RSRC3_GFX90A:ACCUM_OFFSET: 40
; COMPUTE_PGM_RSRC3_GFX90A:TG_SPLIT: 0
	.text
	.p2alignl 6, 3212836864
	.fill 256, 4, 3212836864
	.type	__hip_cuid_d211dfa5a15345fc,@object ; @__hip_cuid_d211dfa5a15345fc
	.section	.bss,"aw",@nobits
	.globl	__hip_cuid_d211dfa5a15345fc
__hip_cuid_d211dfa5a15345fc:
	.byte	0                               ; 0x0
	.size	__hip_cuid_d211dfa5a15345fc, 1

	.ident	"AMD clang version 19.0.0git (https://github.com/RadeonOpenCompute/llvm-project roc-6.4.0 25133 c7fe45cf4b819c5991fe208aaa96edf142730f1d)"
	.section	".note.GNU-stack","",@progbits
	.addrsig
	.addrsig_sym __hip_cuid_d211dfa5a15345fc
	.amdgpu_metadata
---
amdhsa.kernels:
  - .agpr_count:     0
    .args:
      - .actual_access:  read_only
        .address_space:  global
        .offset:         0
        .size:           8
        .value_kind:     global_buffer
      - .offset:         8
        .size:           8
        .value_kind:     by_value
      - .actual_access:  read_only
        .address_space:  global
        .offset:         16
        .size:           8
        .value_kind:     global_buffer
      - .actual_access:  read_only
        .address_space:  global
        .offset:         24
        .size:           8
        .value_kind:     global_buffer
      - .actual_access:  read_only
        .address_space:  global
        .offset:         32
        .size:           8
        .value_kind:     global_buffer
      - .offset:         40
        .size:           8
        .value_kind:     by_value
      - .actual_access:  read_only
        .address_space:  global
        .offset:         48
        .size:           8
        .value_kind:     global_buffer
      - .actual_access:  read_only
        .address_space:  global
        .offset:         56
        .size:           8
        .value_kind:     global_buffer
      - .offset:         64
        .size:           4
        .value_kind:     by_value
      - .actual_access:  read_only
        .address_space:  global
        .offset:         72
        .size:           8
        .value_kind:     global_buffer
      - .actual_access:  read_only
        .address_space:  global
        .offset:         80
        .size:           8
        .value_kind:     global_buffer
      - .actual_access:  read_only
        .address_space:  global
        .offset:         88
        .size:           8
        .value_kind:     global_buffer
      - .actual_access:  write_only
        .address_space:  global
        .offset:         96
        .size:           8
        .value_kind:     global_buffer
    .group_segment_fixed_size: 0
    .kernarg_segment_align: 8
    .kernarg_segment_size: 104
    .language:       OpenCL C
    .language_version:
      - 2
      - 0
    .max_flat_workgroup_size: 55
    .name:           fft_rtc_fwd_len1925_factors_7_11_5_5_wgs_55_tpt_55_halfLds_sp_op_CI_CI_sbrr_dirReg
    .private_segment_fixed_size: 0
    .sgpr_count:     38
    .sgpr_spill_count: 0
    .symbol:         fft_rtc_fwd_len1925_factors_7_11_5_5_wgs_55_tpt_55_halfLds_sp_op_CI_CI_sbrr_dirReg.kd
    .uniform_work_group_size: 1
    .uses_dynamic_stack: false
    .vgpr_count:     163
    .vgpr_spill_count: 0
    .wavefront_size: 64
amdhsa.target:   amdgcn-amd-amdhsa--gfx950
amdhsa.version:
  - 1
  - 2
...

	.end_amdgpu_metadata
